;; amdgpu-corpus repo=ROCm/rocSOLVER kind=compiled arch=gfx1100 opt=O3
	.text
	.amdgcn_target "amdgcn-amd-amdhsa--gfx1100"
	.amdhsa_code_object_version 6
	.section	.text._ZN9rocsolver6v33100L10reset_infoIiiiEEvPT_T0_T1_S4_,"axG",@progbits,_ZN9rocsolver6v33100L10reset_infoIiiiEEvPT_T0_T1_S4_,comdat
	.globl	_ZN9rocsolver6v33100L10reset_infoIiiiEEvPT_T0_T1_S4_ ; -- Begin function _ZN9rocsolver6v33100L10reset_infoIiiiEEvPT_T0_T1_S4_
	.p2align	8
	.type	_ZN9rocsolver6v33100L10reset_infoIiiiEEvPT_T0_T1_S4_,@function
_ZN9rocsolver6v33100L10reset_infoIiiiEEvPT_T0_T1_S4_: ; @_ZN9rocsolver6v33100L10reset_infoIiiiEEvPT_T0_T1_S4_
; %bb.0:
	s_clause 0x1
	s_load_b32 s2, s[0:1], 0x24
	s_load_b128 s[4:7], s[0:1], 0x8
	s_waitcnt lgkmcnt(0)
	s_and_b32 s2, s2, 0xffff
	s_delay_alu instid0(SALU_CYCLE_1) | instskip(SKIP_1) | instid1(VALU_DEP_1)
	v_mad_u64_u32 v[1:2], null, s15, s2, v[0:1]
	s_mov_b32 s2, exec_lo
	v_cmpx_gt_i32_e64 s4, v1
	s_cbranch_execz .LBB0_2
; %bb.1:
	s_load_b64 s[0:1], s[0:1], 0x0
	v_ashrrev_i32_e32 v2, 31, v1
	s_mov_b32 s2, s5
	s_delay_alu instid0(SALU_CYCLE_1) | instskip(NEXT) | instid1(VALU_DEP_2)
	v_mad_u64_u32 v[4:5], null, v1, s6, s[2:3]
	v_lshlrev_b64 v[2:3], 2, v[1:2]
	s_waitcnt lgkmcnt(0)
	s_delay_alu instid0(VALU_DEP_1) | instskip(NEXT) | instid1(VALU_DEP_2)
	v_add_co_u32 v0, vcc_lo, s0, v2
	v_add_co_ci_u32_e32 v1, vcc_lo, s1, v3, vcc_lo
	global_store_b32 v[0:1], v4, off
.LBB0_2:
	s_nop 0
	s_sendmsg sendmsg(MSG_DEALLOC_VGPRS)
	s_endpgm
	.section	.rodata,"a",@progbits
	.p2align	6, 0x0
	.amdhsa_kernel _ZN9rocsolver6v33100L10reset_infoIiiiEEvPT_T0_T1_S4_
		.amdhsa_group_segment_fixed_size 0
		.amdhsa_private_segment_fixed_size 0
		.amdhsa_kernarg_size 280
		.amdhsa_user_sgpr_count 15
		.amdhsa_user_sgpr_dispatch_ptr 0
		.amdhsa_user_sgpr_queue_ptr 0
		.amdhsa_user_sgpr_kernarg_segment_ptr 1
		.amdhsa_user_sgpr_dispatch_id 0
		.amdhsa_user_sgpr_private_segment_size 0
		.amdhsa_wavefront_size32 1
		.amdhsa_uses_dynamic_stack 0
		.amdhsa_enable_private_segment 0
		.amdhsa_system_sgpr_workgroup_id_x 1
		.amdhsa_system_sgpr_workgroup_id_y 0
		.amdhsa_system_sgpr_workgroup_id_z 0
		.amdhsa_system_sgpr_workgroup_info 0
		.amdhsa_system_vgpr_workitem_id 0
		.amdhsa_next_free_vgpr 6
		.amdhsa_next_free_sgpr 16
		.amdhsa_reserve_vcc 1
		.amdhsa_float_round_mode_32 0
		.amdhsa_float_round_mode_16_64 0
		.amdhsa_float_denorm_mode_32 3
		.amdhsa_float_denorm_mode_16_64 3
		.amdhsa_dx10_clamp 1
		.amdhsa_ieee_mode 1
		.amdhsa_fp16_overflow 0
		.amdhsa_workgroup_processor_mode 1
		.amdhsa_memory_ordered 1
		.amdhsa_forward_progress 0
		.amdhsa_shared_vgpr_count 0
		.amdhsa_exception_fp_ieee_invalid_op 0
		.amdhsa_exception_fp_denorm_src 0
		.amdhsa_exception_fp_ieee_div_zero 0
		.amdhsa_exception_fp_ieee_overflow 0
		.amdhsa_exception_fp_ieee_underflow 0
		.amdhsa_exception_fp_ieee_inexact 0
		.amdhsa_exception_int_div_zero 0
	.end_amdhsa_kernel
	.section	.text._ZN9rocsolver6v33100L10reset_infoIiiiEEvPT_T0_T1_S4_,"axG",@progbits,_ZN9rocsolver6v33100L10reset_infoIiiiEEvPT_T0_T1_S4_,comdat
.Lfunc_end0:
	.size	_ZN9rocsolver6v33100L10reset_infoIiiiEEvPT_T0_T1_S4_, .Lfunc_end0-_ZN9rocsolver6v33100L10reset_infoIiiiEEvPT_T0_T1_S4_
                                        ; -- End function
	.section	.AMDGPU.csdata,"",@progbits
; Kernel info:
; codeLenInByte = 136
; NumSgprs: 18
; NumVgprs: 6
; ScratchSize: 0
; MemoryBound: 0
; FloatMode: 240
; IeeeMode: 1
; LDSByteSize: 0 bytes/workgroup (compile time only)
; SGPRBlocks: 2
; VGPRBlocks: 0
; NumSGPRsForWavesPerEU: 18
; NumVGPRsForWavesPerEU: 6
; Occupancy: 16
; WaveLimiterHint : 0
; COMPUTE_PGM_RSRC2:SCRATCH_EN: 0
; COMPUTE_PGM_RSRC2:USER_SGPR: 15
; COMPUTE_PGM_RSRC2:TRAP_HANDLER: 0
; COMPUTE_PGM_RSRC2:TGID_X_EN: 1
; COMPUTE_PGM_RSRC2:TGID_Y_EN: 0
; COMPUTE_PGM_RSRC2:TGID_Z_EN: 0
; COMPUTE_PGM_RSRC2:TIDIG_COMP_CNT: 0
	.section	.text._ZN9rocsolver6v33100L12sterf_kernelIfEEviPT_lS3_lPiS4_iS2_S2_S2_,"axG",@progbits,_ZN9rocsolver6v33100L12sterf_kernelIfEEviPT_lS3_lPiS4_iS2_S2_S2_,comdat
	.globl	_ZN9rocsolver6v33100L12sterf_kernelIfEEviPT_lS3_lPiS4_iS2_S2_S2_ ; -- Begin function _ZN9rocsolver6v33100L12sterf_kernelIfEEviPT_lS3_lPiS4_iS2_S2_S2_
	.p2align	8
	.type	_ZN9rocsolver6v33100L12sterf_kernelIfEEviPT_lS3_lPiS4_iS2_S2_S2_,@function
_ZN9rocsolver6v33100L12sterf_kernelIfEEviPT_lS3_lPiS4_iS2_S2_S2_: ; @_ZN9rocsolver6v33100L12sterf_kernelIfEEviPT_lS3_lPiS4_iS2_S2_S2_
; %bb.0:
	s_mov_b32 s20, s15
	s_clause 0x2
	s_load_b256 s[8:15], s[0:1], 0x8
	s_load_b32 s33, s[0:1], 0x0
	s_load_b128 s[16:19], s[0:1], 0x38
	s_ashr_i32 s21, s20, 31
	s_waitcnt lgkmcnt(0)
	s_mul_i32 s3, s20, s11
	s_mul_hi_u32 s4, s20, s10
	s_mul_i32 s5, s21, s10
	s_add_i32 s3, s4, s3
	s_mul_i32 s2, s20, s10
	s_add_i32 s3, s3, s5
	s_mul_i32 s4, s20, s15
	s_lshl_b64 s[6:7], s[2:3], 2
	s_mul_hi_u32 s5, s20, s14
	s_add_u32 s46, s8, s6
	s_mul_i32 s3, s21, s14
	s_addc_u32 s47, s9, s7
	s_add_i32 s4, s5, s4
	s_mul_i32 s2, s20, s14
	s_add_i32 s3, s4, s3
	s_delay_alu instid0(SALU_CYCLE_1) | instskip(NEXT) | instid1(SALU_CYCLE_1)
	s_lshl_b64 s[2:3], s[2:3], 2
	s_add_u32 s10, s12, s2
	s_addc_u32 s11, s13, s3
	s_min_i32 s4, s33, s16
	s_delay_alu instid0(SALU_CYCLE_1)
	s_cmp_lt_i32 s4, 1
	s_cbranch_scc1 .LBB1_152
; %bb.1:
	s_add_i32 s48, s33, -1
	s_add_u32 s49, s10, -4
	s_addc_u32 s50, s11, -1
	s_add_u32 s51, s46, -4
	s_addc_u32 s52, s47, -1
	s_add_u32 s53, s12, s2
	s_addc_u32 s54, s13, s3
	s_add_u32 s55, s53, -4
	s_addc_u32 s56, s54, -1
	s_add_u32 s57, s8, s6
	s_addc_u32 s58, s9, s7
	v_mul_f32_e64 v0, s17, s17
	s_add_u32 s59, s57, 4
	v_mov_b32_e32 v1, 0
	s_addc_u32 s60, s58, 0
	s_add_u32 s61, s53, 4
	s_mov_b32 s12, 0x667f3bcd
	s_addc_u32 s62, s54, 0
	s_mov_b32 s13, 0x3ff6a09e
	s_mov_b32 s15, 0
	;; [unrolled: 1-line block ×4, first 2 shown]
	s_branch .LBB1_4
.LBB1_2:                                ;   in Loop: Header=BB1_4 Depth=1
	s_cmp_ge_i32 s35, s16
	s_cselect_b32 s2, -1, 0
	s_cmp_ge_i32 s63, s33
	s_cselect_b32 s3, -1, 0
	s_delay_alu instid0(SALU_CYCLE_1)
	s_or_b32 s2, s3, s2
.LBB1_3:                                ;   in Loop: Header=BB1_4 Depth=1
	s_delay_alu instid0(SALU_CYCLE_1)
	s_and_b32 vcc_lo, exec_lo, s2
	s_mov_b32 s64, s35
	s_cbranch_vccnz .LBB1_152
.LBB1_4:                                ; =>This Loop Header: Depth=1
                                        ;     Child Loop BB1_6 Depth 2
                                        ;       Child Loop BB1_12 Depth 3
                                        ;       Child Loop BB1_19 Depth 3
                                        ;     Child Loop BB1_36 Depth 2
                                        ;     Child Loop BB1_30 Depth 2
	;; [unrolled: 1-line block ×4, first 2 shown]
                                        ;       Child Loop BB1_51 Depth 3
                                        ;       Child Loop BB1_63 Depth 3
                                        ;     Child Loop BB1_97 Depth 2
                                        ;       Child Loop BB1_99 Depth 3
                                        ;       Child Loop BB1_112 Depth 3
                                        ;     Child Loop BB1_147 Depth 2
                                        ;     Child Loop BB1_151 Depth 2
	s_mov_b32 s26, s63
	s_branch .LBB1_6
.LBB1_5:                                ;   in Loop: Header=BB1_6 Depth=2
	s_and_not1_b32 vcc_lo, exec_lo, s27
	s_mov_b32 s26, s63
	s_cbranch_vccz .LBB1_25
.LBB1_6:                                ;   Parent Loop BB1_4 Depth=1
                                        ; =>  This Loop Header: Depth=2
                                        ;       Child Loop BB1_12 Depth 3
                                        ;       Child Loop BB1_19 Depth 3
	s_cmp_gt_i32 s26, 0
	s_mov_b32 s27, -1
                                        ; implicit-def: $sgpr4_sgpr5
	s_cbranch_scc1 .LBB1_8
; %bb.7:                                ;   in Loop: Header=BB1_6 Depth=2
	s_mov_b32 s27, 0
	s_delay_alu instid0(SALU_CYCLE_1)
	s_mov_b64 s[4:5], s[26:27]
.LBB1_8:                                ;   in Loop: Header=BB1_6 Depth=2
	s_and_not1_b32 vcc_lo, exec_lo, s27
	s_cbranch_vccnz .LBB1_10
; %bb.9:                                ;   in Loop: Header=BB1_6 Depth=2
	s_mov_b32 s27, s15
	s_delay_alu instid0(SALU_CYCLE_1)
	s_lshl_b64 s[2:3], s[26:27], 2
	s_mov_b64 s[4:5], s[26:27]
	s_add_u32 s2, s49, s2
	s_addc_u32 s3, s50, s3
	global_store_b32 v1, v1, s[2:3]
.LBB1_10:                               ;   in Loop: Header=BB1_6 Depth=2
	s_lshl_b64 s[22:23], s[4:5], 2
	s_mov_b32 s63, s26
	s_add_u32 s28, s55, s22
	s_addc_u32 s29, s56, s23
	s_add_u32 s24, s59, s22
	s_addc_u32 s25, s60, s23
	s_branch .LBB1_12
.LBB1_11:                               ;   in Loop: Header=BB1_12 Depth=3
	s_delay_alu instid0(VALU_DEP_1)
	s_and_not1_b32 vcc_lo, exec_lo, s30
	s_cbranch_vccz .LBB1_14
.LBB1_12:                               ;   Parent Loop BB1_4 Depth=1
                                        ;     Parent Loop BB1_6 Depth=2
                                        ; =>    This Inner Loop Header: Depth=3
	s_mov_b32 s14, s63
	s_mov_b32 s27, -1
	s_cmp_ge_i32 s63, s48
	s_mov_b32 s30, -1
                                        ; implicit-def: $sgpr63
                                        ; implicit-def: $sgpr2_sgpr3
	s_cbranch_scc1 .LBB1_11
; %bb.13:                               ;   in Loop: Header=BB1_12 Depth=3
	s_clause 0x1
	global_load_b64 v[2:3], v1, s[24:25] offset:-4
	global_load_b32 v4, v1, s[28:29] offset:4
	s_mov_b32 s27, 0
	s_waitcnt vmcnt(1)
	v_mul_f32_e64 v5, 0x4f800000, |v2|
	v_cmp_gt_f32_e64 vcc_lo, 0xf800000, |v2|
	v_mul_f32_e64 v6, 0x4f800000, |v3|
	v_cmp_gt_f32_e64 s2, 0xf800000, |v3|
	s_delay_alu instid0(VALU_DEP_3) | instskip(NEXT) | instid1(VALU_DEP_2)
	v_cndmask_b32_e64 v2, |v2|, v5, vcc_lo
	v_cndmask_b32_e64 v3, |v3|, v6, s2
	s_delay_alu instid0(VALU_DEP_2) | instskip(NEXT) | instid1(VALU_DEP_1)
	v_sqrt_f32_e32 v5, v2
	v_sqrt_f32_e32 v6, v3
	s_waitcnt_depctr 0xfff
	v_add_nc_u32_e32 v7, -1, v5
	v_add_nc_u32_e32 v9, 1, v5
	v_add_nc_u32_e32 v8, -1, v6
	v_add_nc_u32_e32 v10, 1, v6
	s_delay_alu instid0(VALU_DEP_4) | instskip(NEXT) | instid1(VALU_DEP_4)
	v_fma_f32 v11, -v7, v5, v2
	v_fma_f32 v13, -v9, v5, v2
	s_delay_alu instid0(VALU_DEP_4) | instskip(NEXT) | instid1(VALU_DEP_4)
	v_fma_f32 v12, -v8, v6, v3
	v_fma_f32 v14, -v10, v6, v3
	s_delay_alu instid0(VALU_DEP_4) | instskip(NEXT) | instid1(VALU_DEP_1)
	v_cmp_ge_f32_e64 s3, 0, v11
	v_cndmask_b32_e64 v5, v5, v7, s3
	s_delay_alu instid0(VALU_DEP_4) | instskip(NEXT) | instid1(VALU_DEP_1)
	v_cmp_ge_f32_e64 s3, 0, v12
	v_cndmask_b32_e64 v6, v6, v8, s3
	v_cmp_lt_f32_e64 s3, 0, v13
	s_delay_alu instid0(VALU_DEP_1) | instskip(SKIP_1) | instid1(VALU_DEP_2)
	v_cndmask_b32_e64 v5, v5, v9, s3
	v_cmp_lt_f32_e64 s3, 0, v14
	v_mul_f32_e32 v7, 0x37800000, v5
	s_delay_alu instid0(VALU_DEP_1) | instskip(NEXT) | instid1(VALU_DEP_3)
	v_cndmask_b32_e32 v5, v5, v7, vcc_lo
	v_cndmask_b32_e64 v6, v6, v10, s3
	v_cmp_class_f32_e64 vcc_lo, v2, 0x260
	s_delay_alu instid0(VALU_DEP_2) | instskip(NEXT) | instid1(VALU_DEP_4)
	v_mul_f32_e32 v8, 0x37800000, v6
	v_cndmask_b32_e32 v2, v5, v2, vcc_lo
	v_cmp_class_f32_e64 vcc_lo, v3, 0x260
	s_delay_alu instid0(VALU_DEP_3)
	v_cndmask_b32_e64 v6, v6, v8, s2
	s_add_u32 s2, s28, 4
	s_addc_u32 s3, s29, 0
	s_add_i32 s63, s14, 1
	s_add_u32 s24, s24, 4
	v_cndmask_b32_e32 v3, v6, v3, vcc_lo
	s_addc_u32 s25, s25, 0
	s_mov_b64 s[28:29], s[2:3]
	s_delay_alu instid0(VALU_DEP_1) | instskip(NEXT) | instid1(VALU_DEP_1)
	v_mul_f32_e32 v2, v2, v3
	v_mul_f32_e32 v2, s17, v2
	s_waitcnt vmcnt(0)
	s_delay_alu instid0(VALU_DEP_1)
	v_cmp_le_f32_e64 s30, |v4|, v2
	s_branch .LBB1_11
.LBB1_14:                               ;   in Loop: Header=BB1_6 Depth=2
	s_and_not1_b32 vcc_lo, exec_lo, s27
	s_mov_b32 s24, -1
	s_cbranch_vccnz .LBB1_21
; %bb.15:                               ;   in Loop: Header=BB1_6 Depth=2
	s_and_not1_b32 vcc_lo, exec_lo, s24
	s_cbranch_vccz .LBB1_22
.LBB1_16:                               ;   in Loop: Header=BB1_6 Depth=2
	s_cmp_lg_u32 s14, s26
	s_mov_b32 s27, -1
	s_cbranch_scc0 .LBB1_23
.LBB1_17:                               ;   in Loop: Header=BB1_6 Depth=2
	s_lshl_b64 s[2:3], s[14:15], 2
	s_delay_alu instid0(SALU_CYCLE_1)
	s_add_u32 s24, s46, s2
	s_addc_u32 s25, s47, s3
	s_cmp_lt_i32 s26, s14
	global_load_b32 v3, v1, s[24:25]
	s_cselect_b32 s30, -1, 0
	s_cmp_ge_i32 s26, s14
	s_waitcnt vmcnt(0)
	v_and_b32_e32 v2, 0x7fffffff, v3
	s_cbranch_scc1 .LBB1_20
; %bb.18:                               ;   in Loop: Header=BB1_6 Depth=2
	s_add_u32 s2, s57, s22
	s_addc_u32 s3, s58, s23
	s_add_u32 s28, s53, s22
	s_addc_u32 s29, s54, s23
	s_mov_b32 s31, s26
.LBB1_19:                               ;   Parent Loop BB1_4 Depth=1
                                        ;     Parent Loop BB1_6 Depth=2
                                        ; =>    This Inner Loop Header: Depth=3
	s_clause 0x1
	global_load_b32 v4, v1, s[2:3]
	global_load_b32 v5, v1, s[28:29]
	s_add_i32 s31, s31, 1
	s_add_u32 s2, s2, 4
	s_addc_u32 s3, s3, 0
	s_add_u32 s28, s28, 4
	s_addc_u32 s29, s29, 0
	s_cmp_lt_i32 s31, s14
	s_waitcnt vmcnt(0)
	v_max3_f32 v2, v2, |v4|, |v5|
	s_cbranch_scc1 .LBB1_19
.LBB1_20:                               ;   in Loop: Header=BB1_6 Depth=2
	s_delay_alu instid0(VALU_DEP_1) | instskip(SKIP_1) | instid1(VALU_DEP_1)
	v_cmp_eq_f32_e64 s3, 0, v2
	s_mov_b32 s2, -1
	s_and_b32 vcc_lo, exec_lo, s3
	s_mov_b32 s65, s26
	s_cbranch_vccz .LBB1_5
	s_branch .LBB1_24
.LBB1_21:                               ;   in Loop: Header=BB1_6 Depth=2
	global_store_b32 v1, v1, s[2:3]
	s_cbranch_execnz .LBB1_16
.LBB1_22:                               ;   in Loop: Header=BB1_6 Depth=2
	s_max_i32 s14, s26, s48
	s_delay_alu instid0(SALU_CYCLE_1)
	s_add_i32 s63, s14, 1
	s_cmp_lg_u32 s14, s26
	s_mov_b32 s27, -1
	s_cbranch_scc1 .LBB1_17
.LBB1_23:                               ;   in Loop: Header=BB1_6 Depth=2
                                        ; implicit-def: $sgpr2
                                        ; implicit-def: $sgpr24_sgpr25
                                        ; implicit-def: $vgpr3
                                        ; implicit-def: $sgpr30
                                        ; implicit-def: $vgpr2
	s_mov_b32 s65, s26
	s_cbranch_execz .LBB1_5
.LBB1_24:                               ;   in Loop: Header=BB1_6 Depth=2
	s_cmp_ge_i32 s63, s33
	s_mov_b32 s2, 0
	s_cselect_b32 s27, -1, 0
	s_mov_b32 s65, s26
	s_branch .LBB1_5
.LBB1_25:                               ;   in Loop: Header=BB1_4 Depth=1
	s_and_b32 vcc_lo, exec_lo, s2
	s_mov_b32 s2, -1
                                        ; implicit-def: $sgpr35
	s_cbranch_vccz .LBB1_3
; %bb.26:                               ;   in Loop: Header=BB1_4 Depth=1
	v_cmp_nlt_f32_e32 vcc_lo, s19, v2
	s_cbranch_vccz .LBB1_32
; %bb.27:                               ;   in Loop: Header=BB1_4 Depth=1
	v_cmp_gt_f32_e32 vcc_lo, s18, v2
	s_cbranch_vccz .LBB1_33
; %bb.28:                               ;   in Loop: Header=BB1_4 Depth=1
	v_div_scale_f32 v4, null, s18, s18, v2
	v_div_scale_f32 v7, vcc_lo, v2, s18, v2
	s_mov_b32 s2, 0
	s_delay_alu instid0(VALU_DEP_2) | instskip(SKIP_2) | instid1(VALU_DEP_1)
	v_rcp_f32_e32 v5, v4
	s_waitcnt_depctr 0xfff
	v_fma_f32 v6, -v4, v5, 1.0
	v_fmac_f32_e32 v5, v6, v5
	s_delay_alu instid0(VALU_DEP_1) | instskip(NEXT) | instid1(VALU_DEP_1)
	v_mul_f32_e32 v6, v7, v5
	v_fma_f32 v8, -v4, v6, v7
	s_delay_alu instid0(VALU_DEP_1) | instskip(NEXT) | instid1(VALU_DEP_1)
	v_fmac_f32_e32 v6, v8, v5
	v_fma_f32 v4, -v4, v6, v7
	s_delay_alu instid0(VALU_DEP_1) | instskip(SKIP_1) | instid1(VALU_DEP_1)
	v_div_fmas_f32 v4, v4, v5, v6
	s_and_b32 vcc_lo, exec_lo, s30
	v_div_fixup_f32 v4, v4, s18, v2
	s_waitcnt vmcnt(0)
	s_delay_alu instid0(VALU_DEP_1)
	v_mul_f32_e32 v5, v3, v4
	global_store_b32 v1, v5, s[24:25]
	s_cbranch_vccz .LBB1_33
; %bb.29:                               ;   in Loop: Header=BB1_4 Depth=1
	s_add_u32 s2, s57, s22
	s_addc_u32 s3, s58, s23
	s_add_u32 s26, s53, s22
	s_addc_u32 s27, s54, s23
	s_mov_b32 s28, s65
	.p2align	6
.LBB1_30:                               ;   Parent Loop BB1_4 Depth=1
                                        ; =>  This Inner Loop Header: Depth=2
	global_load_b32 v5, v1, s[2:3]
	s_add_i32 s28, s28, 1
	s_waitcnt vmcnt(0)
	v_mul_f32_e32 v5, v4, v5
	global_store_b32 v1, v5, s[2:3]
	global_load_b32 v5, v1, s[26:27]
	s_add_u32 s2, s2, 4
	s_addc_u32 s3, s3, 0
	s_waitcnt vmcnt(0)
	v_mul_f32_e32 v5, v4, v5
	global_store_b32 v1, v5, s[26:27]
	s_add_u32 s26, s26, 4
	s_addc_u32 s27, s27, 0
	s_cmp_lt_i32 s28, s14
	s_cbranch_scc1 .LBB1_30
; %bb.31:                               ;   in Loop: Header=BB1_4 Depth=1
	s_mov_b32 s2, -1
	s_branch .LBB1_38
.LBB1_32:                               ;   in Loop: Header=BB1_4 Depth=1
	s_mov_b32 s2, 0
	s_cbranch_execnz .LBB1_34
	s_branch .LBB1_38
.LBB1_33:                               ;   in Loop: Header=BB1_4 Depth=1
	s_branch .LBB1_38
.LBB1_34:                               ;   in Loop: Header=BB1_4 Depth=1
	v_div_scale_f32 v4, null, s19, s19, v2
	v_div_scale_f32 v7, vcc_lo, v2, s19, v2
	s_delay_alu instid0(VALU_DEP_2) | instskip(SKIP_2) | instid1(VALU_DEP_1)
	v_rcp_f32_e32 v5, v4
	s_waitcnt_depctr 0xfff
	v_fma_f32 v6, -v4, v5, 1.0
	v_fmac_f32_e32 v5, v6, v5
	s_delay_alu instid0(VALU_DEP_1) | instskip(NEXT) | instid1(VALU_DEP_1)
	v_mul_f32_e32 v6, v7, v5
	v_fma_f32 v8, -v4, v6, v7
	s_delay_alu instid0(VALU_DEP_1) | instskip(NEXT) | instid1(VALU_DEP_1)
	v_fmac_f32_e32 v6, v8, v5
	v_fma_f32 v4, -v4, v6, v7
	s_delay_alu instid0(VALU_DEP_1) | instskip(SKIP_1) | instid1(VALU_DEP_1)
	v_div_fmas_f32 v4, v4, v5, v6
	s_and_b32 vcc_lo, exec_lo, s30
	v_div_fixup_f32 v4, v4, s19, v2
	s_waitcnt vmcnt(0)
	s_delay_alu instid0(VALU_DEP_1)
	v_mul_f32_e32 v3, v3, v4
	global_store_b32 v1, v3, s[24:25]
	s_cbranch_vccz .LBB1_38
; %bb.35:                               ;   in Loop: Header=BB1_4 Depth=1
	s_add_u32 s2, s57, s22
	s_addc_u32 s3, s58, s23
	s_add_u32 s26, s53, s22
	s_addc_u32 s27, s54, s23
	s_mov_b32 s28, s65
	.p2align	6
.LBB1_36:                               ;   Parent Loop BB1_4 Depth=1
                                        ; =>  This Inner Loop Header: Depth=2
	global_load_b32 v3, v1, s[2:3]
	s_add_i32 s28, s28, 1
	s_waitcnt vmcnt(0)
	v_mul_f32_e32 v3, v4, v3
	global_store_b32 v1, v3, s[2:3]
	global_load_b32 v3, v1, s[26:27]
	s_add_u32 s2, s2, 4
	s_addc_u32 s3, s3, 0
	s_waitcnt vmcnt(0)
	v_mul_f32_e32 v3, v4, v3
	global_store_b32 v1, v3, s[26:27]
	s_add_u32 s26, s26, 4
	s_addc_u32 s27, s27, 0
	s_cmp_ge_i32 s28, s14
	s_cbranch_scc0 .LBB1_36
; %bb.37:                               ;   in Loop: Header=BB1_4 Depth=1
	s_mov_b32 s2, -1
.LBB1_38:                               ;   in Loop: Header=BB1_4 Depth=1
	s_waitcnt vmcnt(0)
	v_cndmask_b32_e64 v3, 0, 1, s30
	s_and_b32 vcc_lo, exec_lo, s2
	s_delay_alu instid0(VALU_DEP_1)
	v_cmp_ne_u32_e64 s2, 1, v3
	s_cbranch_vccz .LBB1_42
; %bb.39:                               ;   in Loop: Header=BB1_4 Depth=1
	s_delay_alu instid0(VALU_DEP_1)
	s_and_b32 vcc_lo, exec_lo, s2
	s_cbranch_vccnz .LBB1_42
; %bb.40:                               ;   in Loop: Header=BB1_4 Depth=1
	s_add_u32 s26, s53, s22
	s_addc_u32 s27, s54, s23
	s_mov_b32 s3, s65
.LBB1_41:                               ;   Parent Loop BB1_4 Depth=1
                                        ; =>  This Inner Loop Header: Depth=2
	global_load_b32 v3, v1, s[26:27]
	s_add_i32 s3, s3, 1
	s_waitcnt vmcnt(0)
	v_mul_f32_e32 v3, v3, v3
	global_store_b32 v1, v3, s[26:27]
	s_add_u32 s26, s26, 4
	s_addc_u32 s27, s27, 0
	s_cmp_lt_i32 s3, s14
	s_cbranch_scc1 .LBB1_41
.LBB1_42:                               ;   in Loop: Header=BB1_4 Depth=1
	s_lshl_b64 s[4:5], s[4:5], 2
                                        ; implicit-def: $sgpr35
	s_delay_alu instid0(SALU_CYCLE_1)
	s_add_u32 s4, s46, s4
	s_addc_u32 s5, s47, s5
	s_clause 0x1
	global_load_b32 v3, v1, s[24:25]
	global_load_b32 v4, v1, s[4:5]
	s_mov_b32 s4, -1
	s_waitcnt vmcnt(0)
	v_cmp_lt_f32_e64 s3, |v3|, |v4|
	s_delay_alu instid0(VALU_DEP_1)
	s_and_b32 s3, s3, exec_lo
	s_cselect_b32 s66, s65, s14
	s_cselect_b32 s26, s14, s65
	s_cmp_lt_i32 s64, s16
	s_cselect_b32 s3, -1, 0
	s_cmp_lt_i32 s66, s26
	v_cndmask_b32_e64 v3, 0, 1, s3
	s_delay_alu instid0(VALU_DEP_1)
	v_cmp_ne_u32_e64 s3, 1, v3
	s_cbranch_scc0 .LBB1_45
; %bb.43:                               ;   in Loop: Header=BB1_4 Depth=1
	s_and_not1_b32 vcc_lo, exec_lo, s4
	s_cbranch_vccz .LBB1_47
.LBB1_44:                               ;   in Loop: Header=BB1_4 Depth=1
	v_cmp_lt_f32_e32 vcc_lo, s19, v2
	s_and_not1_b32 vcc_lo, exec_lo, vcc_lo
	s_cbranch_vccz .LBB1_145
	s_branch .LBB1_148
.LBB1_45:                               ;   in Loop: Header=BB1_4 Depth=1
	s_delay_alu instid0(VALU_DEP_1)
	s_and_b32 vcc_lo, exec_lo, s3
	s_mov_b32 s35, s64
	s_mov_b32 s28, s26
	s_mov_b32 s27, s64
	s_cbranch_vccz .LBB1_49
.LBB1_46:                               ;   in Loop: Header=BB1_4 Depth=1
	s_cbranch_execnz .LBB1_44
.LBB1_47:                               ;   in Loop: Header=BB1_4 Depth=1
	s_delay_alu instid0(VALU_DEP_1)
	s_and_b32 vcc_lo, exec_lo, s3
	s_cbranch_vccz .LBB1_97
	s_branch .LBB1_144
.LBB1_48:                               ;   in Loop: Header=BB1_49 Depth=2
	s_and_not1_b32 vcc_lo, exec_lo, s29
	s_mov_b32 s28, s4
	s_cbranch_vccz .LBB1_46
.LBB1_49:                               ;   Parent Loop BB1_4 Depth=1
                                        ; =>  This Loop Header: Depth=2
                                        ;       Child Loop BB1_51 Depth 3
                                        ;       Child Loop BB1_63 Depth 3
	s_mov_b32 s29, s15
	s_max_i32 s34, s66, s28
	s_lshl_b64 s[36:37], s[28:29], 2
	s_mov_b32 s40, s28
	s_add_u32 s30, s55, s36
	s_addc_u32 s31, s56, s37
	s_add_u32 s4, s59, s36
	s_addc_u32 s5, s60, s37
	s_branch .LBB1_51
	.p2align	6
.LBB1_50:                               ;   in Loop: Header=BB1_51 Depth=3
	s_delay_alu instid0(VALU_DEP_1)
	s_and_not1_b32 vcc_lo, exec_lo, s41
	s_cbranch_vccz .LBB1_53
.LBB1_51:                               ;   Parent Loop BB1_4 Depth=1
                                        ;     Parent Loop BB1_49 Depth=2
                                        ; =>    This Inner Loop Header: Depth=3
	s_mov_b32 s29, s40
	s_mov_b32 s35, -1
	s_cmp_ge_i32 s40, s66
	s_mov_b32 s41, -1
                                        ; implicit-def: $sgpr40
                                        ; implicit-def: $sgpr38_sgpr39
	s_cbranch_scc1 .LBB1_50
; %bb.52:                               ;   in Loop: Header=BB1_51 Depth=3
	s_clause 0x1
	global_load_b64 v[3:4], v1, s[4:5] offset:-4
	global_load_b32 v5, v1, s[30:31] offset:4
	s_add_u32 s38, s30, 4
	s_addc_u32 s39, s31, 0
	s_add_i32 s40, s29, 1
	s_add_u32 s4, s4, 4
	s_addc_u32 s5, s5, 0
	s_mov_b32 s35, 0
	s_mov_b64 s[30:31], s[38:39]
	s_waitcnt vmcnt(1)
	v_mul_f32_e32 v3, v3, v4
	s_delay_alu instid0(VALU_DEP_1) | instskip(SKIP_1) | instid1(VALU_DEP_1)
	v_mul_f32_e64 v3, v0, |v3|
	s_waitcnt vmcnt(0)
	v_cmp_le_f32_e64 s41, |v5|, v3
	s_branch .LBB1_50
.LBB1_53:                               ;   in Loop: Header=BB1_49 Depth=2
	s_and_not1_b32 vcc_lo, exec_lo, s35
	s_cbranch_vccz .LBB1_55
; %bb.54:                               ;   in Loop: Header=BB1_49 Depth=2
	s_mov_b32 s34, s29
	global_store_b32 v1, v1, s[38:39]
.LBB1_55:                               ;   in Loop: Header=BB1_49 Depth=2
	s_add_i32 s4, s28, 1
	s_cmp_eq_u32 s34, s28
	s_mov_b32 s29, -1
	s_cbranch_scc1 .LBB1_71
; %bb.56:                               ;   in Loop: Header=BB1_49 Depth=2
	s_add_u32 s30, s46, s36
	s_addc_u32 s31, s47, s37
	s_cmp_lg_u32 s34, s4
	global_load_b32 v3, v1, s[30:31]
	s_cbranch_scc0 .LBB1_72
; %bb.57:                               ;   in Loop: Header=BB1_49 Depth=2
	s_mov_b32 s67, 0
	s_cmp_lg_u32 s27, s16
	s_mov_b32 s5, 0
                                        ; implicit-def: $sgpr40
	s_cbranch_scc0 .LBB1_76
; %bb.58:                               ;   in Loop: Header=BB1_49 Depth=2
	s_add_u32 s38, s10, s36
	s_addc_u32 s39, s11, s37
	s_mov_b32 s35, s15
	global_load_b32 v4, v1, s[38:39]
	s_lshl_b64 s[4:5], s[34:35], 2
	s_delay_alu instid0(SALU_CYCLE_1)
	s_add_u32 s4, s46, s4
	s_addc_u32 s5, s47, s5
	s_clause 0x1
	global_load_b32 v5, v1, s[4:5]
	global_load_b32 v6, v1, s[30:31] offset:4
	s_cmp_le_i32 s34, s28
	s_waitcnt vmcnt(2)
	v_mul_f32_e32 v7, 0x4f800000, v4
	v_cmp_gt_f32_e32 vcc_lo, 0xf800000, v4
	s_waitcnt vmcnt(0)
	v_sub_f32_e32 v6, v6, v3
	s_delay_alu instid0(VALU_DEP_3) | instskip(NEXT) | instid1(VALU_DEP_1)
	v_cndmask_b32_e32 v4, v4, v7, vcc_lo
	v_sqrt_f32_e32 v7, v4
	s_waitcnt_depctr 0xfff
	v_add_nc_u32_e32 v8, -1, v7
	v_add_nc_u32_e32 v9, 1, v7
	s_delay_alu instid0(VALU_DEP_2) | instskip(NEXT) | instid1(VALU_DEP_2)
	v_fma_f32 v10, -v8, v7, v4
	v_fma_f32 v11, -v9, v7, v4
	s_delay_alu instid0(VALU_DEP_2) | instskip(NEXT) | instid1(VALU_DEP_1)
	v_cmp_ge_f32_e64 s4, 0, v10
	v_cndmask_b32_e64 v7, v7, v8, s4
	s_delay_alu instid0(VALU_DEP_3) | instskip(NEXT) | instid1(VALU_DEP_1)
	v_cmp_lt_f32_e64 s4, 0, v11
	v_cndmask_b32_e64 v7, v7, v9, s4
	s_delay_alu instid0(VALU_DEP_1) | instskip(NEXT) | instid1(VALU_DEP_1)
	v_mul_f32_e32 v8, 0x37800000, v7
	v_cndmask_b32_e32 v7, v7, v8, vcc_lo
	v_cmp_class_f32_e64 vcc_lo, v4, 0x260
	s_delay_alu instid0(VALU_DEP_2) | instskip(NEXT) | instid1(VALU_DEP_1)
	v_cndmask_b32_e32 v4, v7, v4, vcc_lo
	v_add_f32_e32 v7, v4, v4
	s_delay_alu instid0(VALU_DEP_1) | instskip(SKIP_1) | instid1(VALU_DEP_2)
	v_div_scale_f32 v8, null, v7, v7, v6
	v_div_scale_f32 v11, vcc_lo, v6, v7, v6
	v_rcp_f32_e32 v9, v8
	s_waitcnt_depctr 0xfff
	v_fma_f32 v10, -v8, v9, 1.0
	s_delay_alu instid0(VALU_DEP_1) | instskip(NEXT) | instid1(VALU_DEP_1)
	v_fmac_f32_e32 v9, v10, v9
	v_mul_f32_e32 v10, v11, v9
	s_delay_alu instid0(VALU_DEP_1) | instskip(NEXT) | instid1(VALU_DEP_1)
	v_fma_f32 v12, -v8, v10, v11
	v_fmac_f32_e32 v10, v12, v9
	s_delay_alu instid0(VALU_DEP_1) | instskip(NEXT) | instid1(VALU_DEP_1)
	v_fma_f32 v8, -v8, v10, v11
	v_div_fmas_f32 v8, v8, v9, v10
	s_delay_alu instid0(VALU_DEP_1) | instskip(NEXT) | instid1(VALU_DEP_1)
	v_div_fixup_f32 v6, v8, v7, v6
	v_fma_f32 v7, v6, v6, 1.0
	s_delay_alu instid0(VALU_DEP_1) | instskip(SKIP_1) | instid1(VALU_DEP_2)
	v_mul_f32_e32 v8, 0x4f800000, v7
	v_cmp_gt_f32_e32 vcc_lo, 0xf800000, v7
	v_cndmask_b32_e32 v7, v7, v8, vcc_lo
	s_delay_alu instid0(VALU_DEP_1) | instskip(SKIP_3) | instid1(VALU_DEP_2)
	v_sqrt_f32_e32 v8, v7
	s_waitcnt_depctr 0xfff
	v_add_nc_u32_e32 v9, -1, v8
	v_add_nc_u32_e32 v10, 1, v8
	v_fma_f32 v11, -v9, v8, v7
	s_delay_alu instid0(VALU_DEP_2) | instskip(NEXT) | instid1(VALU_DEP_2)
	v_fma_f32 v12, -v10, v8, v7
	v_cmp_ge_f32_e64 s4, 0, v11
	s_delay_alu instid0(VALU_DEP_1) | instskip(NEXT) | instid1(VALU_DEP_3)
	v_cndmask_b32_e64 v8, v8, v9, s4
	v_cmp_lt_f32_e64 s4, 0, v12
	s_delay_alu instid0(VALU_DEP_1) | instskip(NEXT) | instid1(VALU_DEP_1)
	v_cndmask_b32_e64 v8, v8, v10, s4
	v_mul_f32_e32 v9, 0x37800000, v8
	s_delay_alu instid0(VALU_DEP_1) | instskip(SKIP_1) | instid1(VALU_DEP_2)
	v_cndmask_b32_e32 v8, v8, v9, vcc_lo
	v_cmp_class_f32_e64 vcc_lo, v7, 0x260
	v_cndmask_b32_e32 v7, v8, v7, vcc_lo
	v_cmp_nle_f32_e32 vcc_lo, 0, v6
	s_delay_alu instid0(VALU_DEP_2) | instskip(NEXT) | instid1(VALU_DEP_1)
	v_cndmask_b32_e64 v7, |v7|, -|v7|, vcc_lo
	v_add_f32_e32 v6, v6, v7
	s_delay_alu instid0(VALU_DEP_1) | instskip(SKIP_1) | instid1(VALU_DEP_2)
	v_div_scale_f32 v7, null, v6, v6, v4
	v_div_scale_f32 v10, vcc_lo, v4, v6, v4
	v_rcp_f32_e32 v8, v7
	s_waitcnt_depctr 0xfff
	v_fma_f32 v9, -v7, v8, 1.0
	s_delay_alu instid0(VALU_DEP_1) | instskip(NEXT) | instid1(VALU_DEP_1)
	v_fmac_f32_e32 v8, v9, v8
	v_mul_f32_e32 v9, v10, v8
	s_delay_alu instid0(VALU_DEP_1) | instskip(NEXT) | instid1(VALU_DEP_1)
	v_fma_f32 v11, -v7, v9, v10
	v_fmac_f32_e32 v9, v11, v8
	s_delay_alu instid0(VALU_DEP_1) | instskip(NEXT) | instid1(VALU_DEP_1)
	v_fma_f32 v7, -v7, v9, v10
	v_div_fmas_f32 v7, v7, v8, v9
	s_delay_alu instid0(VALU_DEP_1) | instskip(SKIP_1) | instid1(VALU_DEP_2)
	v_div_fixup_f32 v4, v7, v6, v4
	v_mov_b32_e32 v6, 0
	v_sub_f32_e32 v4, v3, v4
	s_delay_alu instid0(VALU_DEP_1) | instskip(NEXT) | instid1(VALU_DEP_1)
	v_sub_f32_e32 v7, v5, v4
	v_mul_f32_e32 v8, v7, v7
	s_cbranch_scc1 .LBB1_75
; %bb.59:                               ;   in Loop: Header=BB1_49 Depth=2
	s_ashr_i32 s35, s34, 31
	s_delay_alu instid0(SALU_CYCLE_1) | instskip(NEXT) | instid1(SALU_CYCLE_1)
	s_lshl_b64 s[40:41], s[34:35], 2
	s_add_u32 s4, s49, s40
	s_addc_u32 s5, s50, s41
	global_load_b32 v5, v1, s[4:5]
	s_add_u32 s4, s51, s40
	s_addc_u32 s5, s52, s41
	global_load_b32 v10, v1, s[4:5]
	s_waitcnt vmcnt(1)
	v_add_f32_e32 v9, v8, v5
	s_delay_alu instid0(VALU_DEP_1) | instskip(NEXT) | instid1(VALU_DEP_1)
	v_div_scale_f32 v6, null, v9, v9, v8
	v_rcp_f32_e32 v12, v6
	s_waitcnt_depctr 0xfff
	v_fma_f32 v14, -v6, v12, 1.0
	s_delay_alu instid0(VALU_DEP_1) | instskip(SKIP_3) | instid1(VALU_DEP_3)
	v_fmac_f32_e32 v12, v14, v12
	v_div_scale_f32 v11, null, v9, v9, v5
	v_div_scale_f32 v16, vcc_lo, v8, v9, v8
	v_div_scale_f32 v14, s4, v5, v9, v5
	v_rcp_f32_e32 v13, v11
	s_waitcnt_depctr 0xfff
	v_fma_f32 v15, -v11, v13, 1.0
	s_delay_alu instid0(VALU_DEP_1) | instskip(SKIP_1) | instid1(VALU_DEP_2)
	v_fmac_f32_e32 v13, v15, v13
	v_mul_f32_e32 v15, v16, v12
	v_mul_f32_e32 v17, v14, v13
	s_delay_alu instid0(VALU_DEP_2) | instskip(NEXT) | instid1(VALU_DEP_2)
	v_fma_f32 v18, -v6, v15, v16
	v_fma_f32 v19, -v11, v17, v14
	s_delay_alu instid0(VALU_DEP_2) | instskip(NEXT) | instid1(VALU_DEP_2)
	v_fmac_f32_e32 v15, v18, v12
	v_fmac_f32_e32 v17, v19, v13
	s_delay_alu instid0(VALU_DEP_2) | instskip(NEXT) | instid1(VALU_DEP_2)
	v_fma_f32 v6, -v6, v15, v16
	v_fma_f32 v11, -v11, v17, v14
	s_delay_alu instid0(VALU_DEP_2)
	v_div_fmas_f32 v12, v6, v12, v15
	s_mov_b32 vcc_lo, s4
	s_add_u32 s4, s46, s40
	s_addc_u32 s5, s47, s41
	v_div_fmas_f32 v6, v11, v13, v17
	s_waitcnt vmcnt(0)
	v_sub_f32_e32 v11, v10, v4
	v_div_fixup_f32 v8, v12, v9, v8
	s_delay_alu instid0(VALU_DEP_3) | instskip(NEXT) | instid1(VALU_DEP_2)
	v_div_fixup_f32 v6, v6, v9, v5
	v_cmp_eq_f32_e32 vcc_lo, 0, v8
	s_delay_alu instid0(VALU_DEP_2) | instskip(SKIP_1) | instid1(VALU_DEP_1)
	v_mul_f32_e32 v9, v7, v6
	s_and_b32 vcc_lo, exec_lo, vcc_lo
	v_fma_f32 v9, v8, v11, -v9
	s_delay_alu instid0(VALU_DEP_1) | instskip(NEXT) | instid1(VALU_DEP_1)
	v_sub_f32_e32 v10, v10, v9
	v_add_f32_e32 v7, v7, v10
	global_store_b32 v1, v7, s[4:5]
	s_cbranch_vccnz .LBB1_61
; %bb.60:                               ;   in Loop: Header=BB1_49 Depth=2
	v_mul_f32_e32 v5, v9, v9
	s_delay_alu instid0(VALU_DEP_1) | instskip(NEXT) | instid1(VALU_DEP_1)
	v_div_scale_f32 v7, null, v8, v8, v5
	v_rcp_f32_e32 v10, v7
	s_waitcnt_depctr 0xfff
	v_fma_f32 v11, -v7, v10, 1.0
	s_delay_alu instid0(VALU_DEP_1) | instskip(SKIP_1) | instid1(VALU_DEP_1)
	v_fmac_f32_e32 v10, v11, v10
	v_div_scale_f32 v11, vcc_lo, v5, v8, v5
	v_mul_f32_e32 v12, v11, v10
	s_delay_alu instid0(VALU_DEP_1) | instskip(NEXT) | instid1(VALU_DEP_1)
	v_fma_f32 v13, -v7, v12, v11
	v_fmac_f32_e32 v12, v13, v10
	s_delay_alu instid0(VALU_DEP_1) | instskip(NEXT) | instid1(VALU_DEP_1)
	v_fma_f32 v7, -v7, v12, v11
	v_div_fmas_f32 v7, v7, v10, v12
	s_delay_alu instid0(VALU_DEP_1)
	v_div_fixup_f32 v5, v7, v8, v5
.LBB1_61:                               ;   in Loop: Header=BB1_49 Depth=2
	s_add_i32 s4, s34, -1
	s_delay_alu instid0(SALU_CYCLE_1)
	s_cmp_le_i32 s4, s28
	s_cbranch_scc1 .LBB1_73
; %bb.62:                               ;   in Loop: Header=BB1_49 Depth=2
	s_add_i32 s4, s34, -2
	s_mov_b32 s35, -1
	s_ashr_i32 s5, s4, 31
	s_delay_alu instid0(SALU_CYCLE_1) | instskip(NEXT) | instid1(SALU_CYCLE_1)
	s_lshl_b64 s[4:5], s[4:5], 2
	s_add_u32 s42, s59, s4
	s_addc_u32 s43, s60, s5
	s_add_u32 s44, s61, s4
	s_addc_u32 s45, s62, s5
.LBB1_63:                               ;   Parent Loop BB1_4 Depth=1
                                        ;     Parent Loop BB1_49 Depth=2
                                        ; =>    This Inner Loop Header: Depth=3
	global_load_b32 v10, v1, s[44:45] offset:-4
	s_add_u32 s40, s44, -4
	s_addc_u32 s41, s45, -1
	s_cmp_eq_u32 s35, 0
	s_waitcnt vmcnt(0)
	v_add_f32_e32 v7, v5, v10
	s_cbranch_scc1 .LBB1_65
; %bb.64:                               ;   in Loop: Header=BB1_63 Depth=3
	s_delay_alu instid0(VALU_DEP_1)
	v_mul_f32_e32 v6, v6, v7
	global_store_b32 v1, v6, s[44:45]
.LBB1_65:                               ;   in Loop: Header=BB1_63 Depth=3
	global_load_b32 v12, v1, s[42:43] offset:-4
	v_div_scale_f32 v6, null, v7, v7, v5
	v_div_scale_f32 v11, null, v7, v7, v10
	v_div_scale_f32 v17, vcc_lo, v5, v7, v5
	s_delay_alu instid0(VALU_DEP_3) | instskip(NEXT) | instid1(VALU_DEP_2)
	v_rcp_f32_e32 v13, v6
	v_rcp_f32_e32 v14, v11
	s_waitcnt_depctr 0xfff
	v_fma_f32 v15, -v6, v13, 1.0
	v_fma_f32 v16, -v11, v14, 1.0
	s_delay_alu instid0(VALU_DEP_1) | instskip(SKIP_1) | instid1(VALU_DEP_2)
	v_dual_fmac_f32 v13, v15, v13 :: v_dual_fmac_f32 v14, v16, v14
	v_div_scale_f32 v15, s4, v10, v7, v10
	v_mul_f32_e32 v16, v17, v13
	s_delay_alu instid0(VALU_DEP_2) | instskip(NEXT) | instid1(VALU_DEP_2)
	v_mul_f32_e32 v18, v15, v14
	v_fma_f32 v19, -v6, v16, v17
	s_delay_alu instid0(VALU_DEP_2) | instskip(NEXT) | instid1(VALU_DEP_2)
	v_fma_f32 v20, -v11, v18, v15
	v_fmac_f32_e32 v16, v19, v13
	s_delay_alu instid0(VALU_DEP_2) | instskip(NEXT) | instid1(VALU_DEP_2)
	v_fmac_f32_e32 v18, v20, v14
	v_fma_f32 v6, -v6, v16, v17
	s_delay_alu instid0(VALU_DEP_2) | instskip(NEXT) | instid1(VALU_DEP_2)
	v_fma_f32 v11, -v11, v18, v15
	v_div_fmas_f32 v13, v6, v13, v16
	s_mov_b32 vcc_lo, s4
	s_add_u32 s4, s42, -4
	s_delay_alu instid0(VALU_DEP_2) | instskip(SKIP_2) | instid1(VALU_DEP_2)
	v_div_fmas_f32 v6, v11, v14, v18
	s_addc_u32 s5, s43, -1
	v_div_fixup_f32 v11, v13, v7, v5
	v_div_fixup_f32 v6, v6, v7, v10
	s_delay_alu instid0(VALU_DEP_2) | instskip(NEXT) | instid1(VALU_DEP_2)
	v_cmp_eq_f32_e32 vcc_lo, 0, v11
	v_mul_f32_e32 v5, v9, v6
	s_and_b32 vcc_lo, exec_lo, vcc_lo
	s_waitcnt vmcnt(0)
	v_sub_f32_e32 v7, v12, v4
	s_delay_alu instid0(VALU_DEP_1) | instskip(NEXT) | instid1(VALU_DEP_1)
	v_fma_f32 v7, v11, v7, -v5
	v_sub_f32_e32 v5, v12, v7
	s_delay_alu instid0(VALU_DEP_1)
	v_add_f32_e32 v5, v9, v5
	global_store_b32 v1, v5, s[42:43]
	s_cbranch_vccz .LBB1_70
; %bb.66:                               ;   in Loop: Header=BB1_63 Depth=3
	v_mul_f32_e32 v5, v8, v10
	s_cbranch_execnz .LBB1_68
.LBB1_67:                               ;   in Loop: Header=BB1_63 Depth=3
	v_mul_f32_e32 v5, v7, v7
	s_delay_alu instid0(VALU_DEP_1) | instskip(NEXT) | instid1(VALU_DEP_1)
	v_div_scale_f32 v8, null, v11, v11, v5
	v_rcp_f32_e32 v9, v8
	s_waitcnt_depctr 0xfff
	v_fma_f32 v10, -v8, v9, 1.0
	s_delay_alu instid0(VALU_DEP_1) | instskip(SKIP_1) | instid1(VALU_DEP_1)
	v_fmac_f32_e32 v9, v10, v9
	v_div_scale_f32 v10, vcc_lo, v5, v11, v5
	v_mul_f32_e32 v12, v10, v9
	s_delay_alu instid0(VALU_DEP_1) | instskip(NEXT) | instid1(VALU_DEP_1)
	v_fma_f32 v13, -v8, v12, v10
	v_fmac_f32_e32 v12, v13, v9
	s_delay_alu instid0(VALU_DEP_1) | instskip(NEXT) | instid1(VALU_DEP_1)
	v_fma_f32 v8, -v8, v12, v10
	v_div_fmas_f32 v8, v8, v9, v12
	s_delay_alu instid0(VALU_DEP_1)
	v_div_fixup_f32 v5, v8, v11, v5
.LBB1_68:                               ;   in Loop: Header=BB1_63 Depth=3
	s_add_i32 s35, s35, -1
	s_delay_alu instid0(SALU_CYCLE_1) | instskip(NEXT) | instid1(SALU_CYCLE_1)
	s_add_i32 s42, s34, s35
	s_cmp_le_i32 s42, s28
	s_cbranch_scc1 .LBB1_74
; %bb.69:                               ;   in Loop: Header=BB1_63 Depth=3
	v_mov_b32_e32 v8, v11
	v_mov_b32_e32 v9, v7
	s_mov_b64 s[44:45], s[40:41]
	s_mov_b64 s[42:43], s[4:5]
	s_branch .LBB1_63
.LBB1_70:                               ;   in Loop: Header=BB1_63 Depth=3
                                        ; implicit-def: $vgpr5
	s_branch .LBB1_67
.LBB1_71:                               ;   in Loop: Header=BB1_49 Depth=2
                                        ; implicit-def: $sgpr35
	s_cbranch_execz .LBB1_48
	s_branch .LBB1_95
.LBB1_72:                               ;   in Loop: Header=BB1_49 Depth=2
	s_mov_b32 s5, 0
                                        ; implicit-def: $sgpr35
                                        ; implicit-def: $sgpr4
                                        ; implicit-def: $sgpr40
	s_cbranch_execnz .LBB1_77
	s_branch .LBB1_94
.LBB1_73:                               ;   in Loop: Header=BB1_49 Depth=2
	v_mov_b32_e32 v7, v9
.LBB1_74:                               ;   in Loop: Header=BB1_49 Depth=2
	v_mov_b32_e32 v8, v5
.LBB1_75:                               ;   in Loop: Header=BB1_49 Depth=2
	s_delay_alu instid0(VALU_DEP_1)
	v_dual_mul_f32 v5, v6, v8 :: v_dual_add_f32 v4, v4, v7
	s_add_i32 s40, s27, 1
	s_mov_b32 s5, -1
	s_clause 0x1
	global_store_b32 v1, v5, s[38:39]
	global_store_b32 v1, v4, s[30:31]
.LBB1_76:                               ;   in Loop: Header=BB1_49 Depth=2
	s_mov_b32 s35, s16
	s_mov_b32 s4, s28
	s_and_b32 vcc_lo, exec_lo, s67
	s_cbranch_vccz .LBB1_94
.LBB1_77:                               ;   in Loop: Header=BB1_49 Depth=2
	s_add_u32 s36, s10, s36
	s_addc_u32 s37, s11, s37
	s_mov_b32 s35, s15
	global_load_b32 v4, v1, s[36:37]
	s_lshl_b64 s[4:5], s[34:35], 2
	s_delay_alu instid0(SALU_CYCLE_1)
	s_add_u32 s34, s46, s4
	s_addc_u32 s35, s47, s5
	global_load_b32 v5, v1, s[34:35]
	s_waitcnt vmcnt(1)
	v_mul_f32_e32 v6, 0x4f800000, v4
	v_cmp_gt_f32_e32 vcc_lo, 0xf800000, v4
	s_delay_alu instid0(VALU_DEP_2) | instskip(NEXT) | instid1(VALU_DEP_1)
	v_cndmask_b32_e32 v4, v4, v6, vcc_lo
	v_sqrt_f32_e32 v6, v4
	s_waitcnt_depctr 0xfff
	v_add_nc_u32_e32 v7, -1, v6
	v_add_nc_u32_e32 v8, 1, v6
	s_delay_alu instid0(VALU_DEP_2) | instskip(NEXT) | instid1(VALU_DEP_2)
	v_fma_f32 v9, -v7, v6, v4
	v_fma_f32 v10, -v8, v6, v4
	s_delay_alu instid0(VALU_DEP_2) | instskip(NEXT) | instid1(VALU_DEP_1)
	v_cmp_ge_f32_e64 s4, 0, v9
	v_cndmask_b32_e64 v6, v6, v7, s4
	s_delay_alu instid0(VALU_DEP_3) | instskip(NEXT) | instid1(VALU_DEP_1)
	v_cmp_lt_f32_e64 s4, 0, v10
	v_cndmask_b32_e64 v6, v6, v8, s4
	s_delay_alu instid0(VALU_DEP_1) | instskip(NEXT) | instid1(VALU_DEP_1)
	v_mul_f32_e32 v7, 0x37800000, v6
	v_cndmask_b32_e32 v6, v6, v7, vcc_lo
	v_cmp_class_f32_e64 vcc_lo, v4, 0x260
	s_waitcnt vmcnt(0)
	s_delay_alu instid0(VALU_DEP_2) | instskip(NEXT) | instid1(VALU_DEP_1)
	v_dual_sub_f32 v7, v3, v5 :: v_dual_cndmask_b32 v4, v6, v4
	v_add_f32_e32 v8, v4, v4
	s_delay_alu instid0(VALU_DEP_1) | instskip(SKIP_1) | instid1(VALU_DEP_2)
	v_cmp_ngt_f32_e64 s4, |v7|, |v8|
	v_and_b32_e32 v9, 0x7fffffff, v8
	s_and_b32 vcc_lo, exec_lo, s4
	s_cbranch_vccz .LBB1_80
; %bb.78:                               ;   in Loop: Header=BB1_49 Depth=2
	v_cmp_nlt_f32_e64 s4, |v7|, |v8|
	s_delay_alu instid0(VALU_DEP_1)
	s_and_b32 vcc_lo, exec_lo, s4
	s_cbranch_vccz .LBB1_81
; %bb.79:                               ;   in Loop: Header=BB1_49 Depth=2
	v_cvt_f64_f32_e32 v[10:11], v9
	s_delay_alu instid0(VALU_DEP_1) | instskip(NEXT) | instid1(VALU_DEP_1)
	v_mul_f64 v[10:11], v[10:11], s[12:13]
	v_cvt_f32_f64_e32 v6, v[10:11]
	s_cbranch_execz .LBB1_82
	s_branch .LBB1_83
.LBB1_80:                               ;   in Loop: Header=BB1_49 Depth=2
                                        ; implicit-def: $vgpr6
	s_branch .LBB1_84
.LBB1_81:                               ;   in Loop: Header=BB1_49 Depth=2
                                        ; implicit-def: $vgpr6
.LBB1_82:                               ;   in Loop: Header=BB1_49 Depth=2
	v_and_b32_e32 v6, 0x7fffffff, v7
	s_delay_alu instid0(VALU_DEP_1) | instskip(SKIP_1) | instid1(VALU_DEP_2)
	v_div_scale_f32 v10, null, v9, v9, v6
	v_div_scale_f32 v6, vcc_lo, v6, v9, v6
	v_rcp_f32_e32 v11, v10
	s_waitcnt_depctr 0xfff
	v_fma_f32 v12, -v10, v11, 1.0
	s_delay_alu instid0(VALU_DEP_1) | instskip(NEXT) | instid1(VALU_DEP_1)
	v_fmac_f32_e32 v11, v12, v11
	v_mul_f32_e32 v12, v6, v11
	s_delay_alu instid0(VALU_DEP_1) | instskip(NEXT) | instid1(VALU_DEP_1)
	v_fma_f32 v13, -v10, v12, v6
	v_fmac_f32_e32 v12, v13, v11
	s_delay_alu instid0(VALU_DEP_1) | instskip(NEXT) | instid1(VALU_DEP_1)
	v_fma_f32 v6, -v10, v12, v6
	v_div_fmas_f32 v6, v6, v11, v12
	s_delay_alu instid0(VALU_DEP_1) | instskip(NEXT) | instid1(VALU_DEP_1)
	v_div_fixup_f32 v6, v6, |v8|, |v7|
	v_fma_f32 v6, v6, v6, 1.0
	s_delay_alu instid0(VALU_DEP_1) | instskip(SKIP_1) | instid1(VALU_DEP_2)
	v_mul_f32_e32 v10, 0x4f800000, v6
	v_cmp_gt_f32_e32 vcc_lo, 0xf800000, v6
	v_cndmask_b32_e32 v6, v6, v10, vcc_lo
	s_delay_alu instid0(VALU_DEP_1) | instskip(SKIP_3) | instid1(VALU_DEP_2)
	v_sqrt_f32_e32 v10, v6
	s_waitcnt_depctr 0xfff
	v_add_nc_u32_e32 v11, -1, v10
	v_add_nc_u32_e32 v12, 1, v10
	v_fma_f32 v13, -v11, v10, v6
	s_delay_alu instid0(VALU_DEP_2) | instskip(NEXT) | instid1(VALU_DEP_2)
	v_fma_f32 v14, -v12, v10, v6
	v_cmp_ge_f32_e64 s4, 0, v13
	s_delay_alu instid0(VALU_DEP_1) | instskip(NEXT) | instid1(VALU_DEP_3)
	v_cndmask_b32_e64 v10, v10, v11, s4
	v_cmp_lt_f32_e64 s4, 0, v14
	s_delay_alu instid0(VALU_DEP_1) | instskip(NEXT) | instid1(VALU_DEP_1)
	v_cndmask_b32_e64 v10, v10, v12, s4
	v_mul_f32_e32 v11, 0x37800000, v10
	s_delay_alu instid0(VALU_DEP_1) | instskip(SKIP_1) | instid1(VALU_DEP_2)
	v_cndmask_b32_e32 v10, v10, v11, vcc_lo
	v_cmp_class_f32_e64 vcc_lo, v6, 0x260
	v_cndmask_b32_e32 v6, v10, v6, vcc_lo
	s_delay_alu instid0(VALU_DEP_1)
	v_mul_f32_e64 v6, |v8|, v6
.LBB1_83:                               ;   in Loop: Header=BB1_49 Depth=2
	s_cbranch_execnz .LBB1_85
.LBB1_84:                               ;   in Loop: Header=BB1_49 Depth=2
	v_and_b32_e32 v6, 0x7fffffff, v7
	s_delay_alu instid0(VALU_DEP_1) | instskip(SKIP_1) | instid1(VALU_DEP_2)
	v_div_scale_f32 v10, null, v6, v6, v9
	v_div_scale_f32 v6, vcc_lo, v9, v6, v9
	v_rcp_f32_e32 v11, v10
	s_waitcnt_depctr 0xfff
	v_fma_f32 v12, -v10, v11, 1.0
	s_delay_alu instid0(VALU_DEP_1) | instskip(NEXT) | instid1(VALU_DEP_1)
	v_fmac_f32_e32 v11, v12, v11
	v_mul_f32_e32 v9, v6, v11
	s_delay_alu instid0(VALU_DEP_1) | instskip(NEXT) | instid1(VALU_DEP_1)
	v_fma_f32 v12, -v10, v9, v6
	v_fmac_f32_e32 v9, v12, v11
	s_delay_alu instid0(VALU_DEP_1) | instskip(NEXT) | instid1(VALU_DEP_1)
	v_fma_f32 v6, -v10, v9, v6
	v_div_fmas_f32 v6, v6, v11, v9
	s_delay_alu instid0(VALU_DEP_1) | instskip(NEXT) | instid1(VALU_DEP_1)
	v_div_fixup_f32 v6, v6, |v7|, |v8|
	v_fma_f32 v6, v6, v6, 1.0
	s_delay_alu instid0(VALU_DEP_1) | instskip(SKIP_1) | instid1(VALU_DEP_2)
	v_mul_f32_e32 v8, 0x4f800000, v6
	v_cmp_gt_f32_e32 vcc_lo, 0xf800000, v6
	v_cndmask_b32_e32 v6, v6, v8, vcc_lo
	s_delay_alu instid0(VALU_DEP_1) | instskip(SKIP_3) | instid1(VALU_DEP_2)
	v_sqrt_f32_e32 v8, v6
	s_waitcnt_depctr 0xfff
	v_add_nc_u32_e32 v9, -1, v8
	v_add_nc_u32_e32 v10, 1, v8
	v_fma_f32 v11, -v9, v8, v6
	s_delay_alu instid0(VALU_DEP_2) | instskip(NEXT) | instid1(VALU_DEP_2)
	v_fma_f32 v12, -v10, v8, v6
	v_cmp_ge_f32_e64 s4, 0, v11
	s_delay_alu instid0(VALU_DEP_1) | instskip(NEXT) | instid1(VALU_DEP_3)
	v_cndmask_b32_e64 v8, v8, v9, s4
	v_cmp_lt_f32_e64 s4, 0, v12
	s_delay_alu instid0(VALU_DEP_1) | instskip(NEXT) | instid1(VALU_DEP_1)
	v_cndmask_b32_e64 v8, v8, v10, s4
	v_mul_f32_e32 v9, 0x37800000, v8
	s_delay_alu instid0(VALU_DEP_1) | instskip(SKIP_1) | instid1(VALU_DEP_2)
	v_cndmask_b32_e32 v8, v8, v9, vcc_lo
	v_cmp_class_f32_e64 vcc_lo, v6, 0x260
	v_cndmask_b32_e32 v6, v8, v6, vcc_lo
	s_delay_alu instid0(VALU_DEP_1)
	v_mul_f32_e64 v6, |v7|, v6
.LBB1_85:                               ;   in Loop: Header=BB1_49 Depth=2
	v_cmp_gt_f32_e64 vcc_lo, |v3|, |v5|
	v_add_f32_e32 v8, v3, v5
	v_cndmask_b32_e32 v7, v3, v5, vcc_lo
	v_cndmask_b32_e32 v5, v5, v3, vcc_lo
	s_delay_alu instid0(VALU_DEP_3) | instskip(NEXT) | instid1(VALU_DEP_1)
	v_cmp_ngt_f32_e64 s4, 0, v8
	s_and_b32 vcc_lo, exec_lo, s4
	s_cbranch_vccz .LBB1_88
; %bb.86:                               ;   in Loop: Header=BB1_49 Depth=2
	v_cmp_nlt_f32_e32 vcc_lo, 0, v8
	s_cbranch_vccz .LBB1_89
; %bb.87:                               ;   in Loop: Header=BB1_49 Depth=2
	v_mul_f32_e32 v3, 0.5, v6
	v_mul_f32_e32 v9, -0.5, v6
	s_cbranch_execz .LBB1_90
	s_branch .LBB1_91
.LBB1_88:                               ;   in Loop: Header=BB1_49 Depth=2
                                        ; implicit-def: $vgpr9
                                        ; implicit-def: $vgpr3
	s_branch .LBB1_92
.LBB1_89:                               ;   in Loop: Header=BB1_49 Depth=2
                                        ; implicit-def: $vgpr9
                                        ; implicit-def: $vgpr3
.LBB1_90:                               ;   in Loop: Header=BB1_49 Depth=2
	v_add_f32_e32 v3, v8, v6
	v_cvt_f64_f32_e32 v[9:10], v5
	v_cvt_f64_f32_e32 v[13:14], v4
	s_delay_alu instid0(VALU_DEP_3) | instskip(NEXT) | instid1(VALU_DEP_1)
	v_mul_f32_e32 v3, 0.5, v3
	v_cvt_f64_f32_e32 v[11:12], v3
	s_delay_alu instid0(VALU_DEP_1) | instskip(NEXT) | instid1(VALU_DEP_4)
	v_div_scale_f64 v[15:16], null, v[11:12], v[11:12], v[9:10]
	v_div_scale_f64 v[17:18], null, v[11:12], v[11:12], v[13:14]
	v_div_scale_f64 v[27:28], vcc_lo, v[9:10], v[11:12], v[9:10]
	s_delay_alu instid0(VALU_DEP_3) | instskip(NEXT) | instid1(VALU_DEP_2)
	v_rcp_f64_e32 v[19:20], v[15:16]
	v_rcp_f64_e32 v[21:22], v[17:18]
	s_waitcnt_depctr 0xfff
	v_fma_f64 v[23:24], -v[15:16], v[19:20], 1.0
	v_fma_f64 v[25:26], -v[17:18], v[21:22], 1.0
	s_delay_alu instid0(VALU_DEP_2) | instskip(NEXT) | instid1(VALU_DEP_2)
	v_fma_f64 v[19:20], v[19:20], v[23:24], v[19:20]
	v_fma_f64 v[21:22], v[21:22], v[25:26], v[21:22]
	s_delay_alu instid0(VALU_DEP_2) | instskip(NEXT) | instid1(VALU_DEP_2)
	v_fma_f64 v[23:24], -v[15:16], v[19:20], 1.0
	v_fma_f64 v[25:26], -v[17:18], v[21:22], 1.0
	s_delay_alu instid0(VALU_DEP_2) | instskip(SKIP_1) | instid1(VALU_DEP_3)
	v_fma_f64 v[19:20], v[19:20], v[23:24], v[19:20]
	v_div_scale_f64 v[23:24], s4, v[13:14], v[11:12], v[13:14]
	v_fma_f64 v[21:22], v[21:22], v[25:26], v[21:22]
	s_delay_alu instid0(VALU_DEP_3) | instskip(NEXT) | instid1(VALU_DEP_2)
	v_mul_f64 v[25:26], v[27:28], v[19:20]
	v_mul_f64 v[29:30], v[23:24], v[21:22]
	s_delay_alu instid0(VALU_DEP_2) | instskip(NEXT) | instid1(VALU_DEP_2)
	v_fma_f64 v[15:16], -v[15:16], v[25:26], v[27:28]
	v_fma_f64 v[17:18], -v[17:18], v[29:30], v[23:24]
	s_delay_alu instid0(VALU_DEP_2) | instskip(SKIP_1) | instid1(VALU_DEP_2)
	v_div_fmas_f64 v[15:16], v[15:16], v[19:20], v[25:26]
	s_mov_b32 vcc_lo, s4
	v_div_fmas_f64 v[17:18], v[17:18], v[21:22], v[29:30]
	s_delay_alu instid0(VALU_DEP_2) | instskip(NEXT) | instid1(VALU_DEP_2)
	v_div_fixup_f64 v[9:10], v[15:16], v[11:12], v[9:10]
	v_div_fixup_f64 v[17:18], v[17:18], v[11:12], v[13:14]
	v_cvt_f64_f32_e32 v[11:12], v7
	s_delay_alu instid0(VALU_DEP_2) | instskip(NEXT) | instid1(VALU_DEP_1)
	v_mul_f64 v[13:14], v[17:18], v[13:14]
	v_fma_f64 v[9:10], v[9:10], v[11:12], -v[13:14]
	s_delay_alu instid0(VALU_DEP_1)
	v_cvt_f32_f64_e32 v9, v[9:10]
.LBB1_91:                               ;   in Loop: Header=BB1_49 Depth=2
	s_cbranch_execnz .LBB1_93
.LBB1_92:                               ;   in Loop: Header=BB1_49 Depth=2
	v_sub_f32_e32 v3, v8, v6
	v_cvt_f64_f32_e32 v[5:6], v5
	v_cvt_f64_f32_e32 v[10:11], v4
	s_delay_alu instid0(VALU_DEP_3) | instskip(NEXT) | instid1(VALU_DEP_1)
	v_mul_f32_e32 v3, 0.5, v3
	v_cvt_f64_f32_e32 v[8:9], v3
	s_delay_alu instid0(VALU_DEP_1) | instskip(NEXT) | instid1(VALU_DEP_4)
	v_div_scale_f64 v[12:13], null, v[8:9], v[8:9], v[5:6]
	v_div_scale_f64 v[14:15], null, v[8:9], v[8:9], v[10:11]
	v_div_scale_f64 v[24:25], vcc_lo, v[5:6], v[8:9], v[5:6]
	s_delay_alu instid0(VALU_DEP_3) | instskip(NEXT) | instid1(VALU_DEP_2)
	v_rcp_f64_e32 v[16:17], v[12:13]
	v_rcp_f64_e32 v[18:19], v[14:15]
	s_waitcnt_depctr 0xfff
	v_fma_f64 v[20:21], -v[12:13], v[16:17], 1.0
	v_fma_f64 v[22:23], -v[14:15], v[18:19], 1.0
	s_delay_alu instid0(VALU_DEP_2) | instskip(NEXT) | instid1(VALU_DEP_2)
	v_fma_f64 v[16:17], v[16:17], v[20:21], v[16:17]
	v_fma_f64 v[18:19], v[18:19], v[22:23], v[18:19]
	s_delay_alu instid0(VALU_DEP_2) | instskip(NEXT) | instid1(VALU_DEP_2)
	v_fma_f64 v[20:21], -v[12:13], v[16:17], 1.0
	v_fma_f64 v[22:23], -v[14:15], v[18:19], 1.0
	s_delay_alu instid0(VALU_DEP_2) | instskip(SKIP_1) | instid1(VALU_DEP_3)
	v_fma_f64 v[16:17], v[16:17], v[20:21], v[16:17]
	v_div_scale_f64 v[20:21], s4, v[10:11], v[8:9], v[10:11]
	v_fma_f64 v[18:19], v[18:19], v[22:23], v[18:19]
	s_delay_alu instid0(VALU_DEP_3) | instskip(NEXT) | instid1(VALU_DEP_2)
	v_mul_f64 v[22:23], v[24:25], v[16:17]
	v_mul_f64 v[26:27], v[20:21], v[18:19]
	s_delay_alu instid0(VALU_DEP_2) | instskip(NEXT) | instid1(VALU_DEP_2)
	v_fma_f64 v[12:13], -v[12:13], v[22:23], v[24:25]
	v_fma_f64 v[14:15], -v[14:15], v[26:27], v[20:21]
	s_delay_alu instid0(VALU_DEP_2) | instskip(SKIP_1) | instid1(VALU_DEP_2)
	v_div_fmas_f64 v[12:13], v[12:13], v[16:17], v[22:23]
	s_mov_b32 vcc_lo, s4
	v_div_fmas_f64 v[14:15], v[14:15], v[18:19], v[26:27]
	s_delay_alu instid0(VALU_DEP_2) | instskip(SKIP_1) | instid1(VALU_DEP_3)
	v_div_fixup_f64 v[4:5], v[12:13], v[8:9], v[5:6]
	v_cvt_f64_f32_e32 v[6:7], v7
	v_div_fixup_f64 v[14:15], v[14:15], v[8:9], v[10:11]
	s_delay_alu instid0(VALU_DEP_1) | instskip(NEXT) | instid1(VALU_DEP_1)
	v_mul_f64 v[8:9], v[14:15], v[10:11]
	v_fma_f64 v[4:5], v[4:5], v[6:7], -v[8:9]
	s_delay_alu instid0(VALU_DEP_1)
	v_cvt_f32_f64_e32 v9, v[4:5]
.LBB1_93:                               ;   in Loop: Header=BB1_49 Depth=2
	s_add_i32 s4, s28, 2
	s_mov_b32 s5, -1
	s_mov_b32 s40, s27
	s_clause 0x2
	global_store_b32 v1, v3, s[30:31]
	global_store_b32 v1, v9, s[34:35]
	;; [unrolled: 1-line block ×3, first 2 shown]
                                        ; implicit-def: $sgpr35
.LBB1_94:                               ;   in Loop: Header=BB1_49 Depth=2
	s_mov_b32 s27, s40
	s_and_b32 vcc_lo, exec_lo, s5
	s_cbranch_vccz .LBB1_48
.LBB1_95:                               ;   in Loop: Header=BB1_49 Depth=2
	s_cmp_gt_i32 s4, s66
	s_mov_b32 s35, s27
	s_cselect_b32 s5, -1, 0
	s_cmp_ge_i32 s27, s16
	s_cselect_b32 s28, -1, 0
	s_delay_alu instid0(SALU_CYCLE_1)
	s_or_b32 s29, s5, s28
	s_branch .LBB1_48
.LBB1_96:                               ;   in Loop: Header=BB1_97 Depth=2
	s_and_not1_b32 vcc_lo, exec_lo, s27
	s_mov_b32 s26, s3
	s_cbranch_vccz .LBB1_143
.LBB1_97:                               ;   Parent Loop BB1_4 Depth=1
                                        ; =>  This Loop Header: Depth=2
                                        ;       Child Loop BB1_99 Depth 3
                                        ;       Child Loop BB1_112 Depth 3
	s_ashr_i32 s27, s26, 31
	s_min_i32 s28, s66, s26
	s_lshl_b64 s[30:31], s[26:27], 2
	s_mov_b32 s27, s26
	s_add_u32 s34, s57, s30
	s_addc_u32 s35, s58, s31
	s_add_u32 s4, s61, s30
	s_addc_u32 s5, s62, s31
	s_branch .LBB1_99
	.p2align	6
.LBB1_98:                               ;   in Loop: Header=BB1_99 Depth=3
	s_delay_alu instid0(VALU_DEP_1)
	s_and_not1_b32 vcc_lo, exec_lo, s36
	s_cbranch_vccz .LBB1_101
.LBB1_99:                               ;   Parent Loop BB1_4 Depth=1
                                        ;     Parent Loop BB1_97 Depth=2
                                        ; =>    This Inner Loop Header: Depth=3
	s_mov_b32 s3, s27
	s_mov_b32 s29, -1
	s_cmp_le_i32 s27, s66
	s_mov_b32 s36, -1
                                        ; implicit-def: $sgpr27
	s_cbranch_scc1 .LBB1_98
; %bb.100:                              ;   in Loop: Header=BB1_99 Depth=3
	s_clause 0x1
	global_load_b64 v[3:4], v1, s[34:35] offset:-4
	global_load_b32 v5, v1, s[4:5] offset:-8
	s_add_i32 s27, s3, -1
	s_add_u32 s34, s34, -4
	s_addc_u32 s35, s35, -1
	s_add_u32 s4, s4, -4
	s_addc_u32 s5, s5, -1
	s_mov_b32 s29, 0
	s_waitcnt vmcnt(1)
	v_mul_f32_e32 v3, v4, v3
	s_delay_alu instid0(VALU_DEP_1) | instskip(SKIP_1) | instid1(VALU_DEP_1)
	v_mul_f32_e64 v3, v0, |v3|
	s_waitcnt vmcnt(0)
	v_cmp_le_f32_e64 s36, |v5|, v3
	s_branch .LBB1_98
.LBB1_101:                              ;   in Loop: Header=BB1_97 Depth=2
	s_and_not1_b32 vcc_lo, exec_lo, s29
	s_cbranch_vccz .LBB1_103
; %bb.102:                              ;   in Loop: Header=BB1_97 Depth=2
	s_mov_b32 s28, s3
	global_store_b32 v1, v1, s[4:5] offset:-4
.LBB1_103:                              ;   in Loop: Header=BB1_97 Depth=2
	s_add_i32 s3, s26, -1
	s_cmp_eq_u32 s28, s26
	s_mov_b32 s27, -1
	s_cbranch_scc1 .LBB1_118
; %bb.104:                              ;   in Loop: Header=BB1_97 Depth=2
	s_add_u32 s4, s46, s30
	s_addc_u32 s5, s47, s31
	s_cmp_lg_u32 s28, s3
	global_load_b32 v3, v1, s[4:5]
	s_cbranch_scc0 .LBB1_119
; %bb.105:                              ;   in Loop: Header=BB1_97 Depth=2
	s_mov_b32 s38, 0
	s_cmp_lg_u32 s64, s16
	s_mov_b32 s34, 0
                                        ; implicit-def: $sgpr35
	s_cbranch_scc0 .LBB1_123
; %bb.106:                              ;   in Loop: Header=BB1_97 Depth=2
	s_add_u32 s30, s49, s30
	s_addc_u32 s31, s50, s31
	s_ashr_i32 s29, s28, 31
	global_load_b32 v4, v1, s[30:31]
	s_lshl_b64 s[36:37], s[28:29], 2
	s_delay_alu instid0(SALU_CYCLE_1)
	s_add_u32 s34, s46, s36
	s_addc_u32 s35, s47, s37
	s_clause 0x1
	global_load_b32 v5, v1, s[34:35]
	global_load_b32 v6, v1, s[4:5] offset:-4
	s_cmp_ge_i32 s28, s26
	s_waitcnt vmcnt(2)
	v_mul_f32_e32 v7, 0x4f800000, v4
	v_cmp_gt_f32_e32 vcc_lo, 0xf800000, v4
	s_waitcnt vmcnt(0)
	v_sub_f32_e32 v6, v6, v3
	s_delay_alu instid0(VALU_DEP_3) | instskip(NEXT) | instid1(VALU_DEP_1)
	v_cndmask_b32_e32 v4, v4, v7, vcc_lo
	v_sqrt_f32_e32 v7, v4
	s_waitcnt_depctr 0xfff
	v_add_nc_u32_e32 v8, -1, v7
	v_add_nc_u32_e32 v9, 1, v7
	s_delay_alu instid0(VALU_DEP_2) | instskip(NEXT) | instid1(VALU_DEP_2)
	v_fma_f32 v10, -v8, v7, v4
	v_fma_f32 v11, -v9, v7, v4
	s_delay_alu instid0(VALU_DEP_2) | instskip(NEXT) | instid1(VALU_DEP_1)
	v_cmp_ge_f32_e64 s3, 0, v10
	v_cndmask_b32_e64 v7, v7, v8, s3
	s_delay_alu instid0(VALU_DEP_3) | instskip(NEXT) | instid1(VALU_DEP_1)
	v_cmp_lt_f32_e64 s3, 0, v11
	v_cndmask_b32_e64 v7, v7, v9, s3
	s_delay_alu instid0(VALU_DEP_1) | instskip(NEXT) | instid1(VALU_DEP_1)
	v_mul_f32_e32 v8, 0x37800000, v7
	v_cndmask_b32_e32 v7, v7, v8, vcc_lo
	v_cmp_class_f32_e64 vcc_lo, v4, 0x260
	s_delay_alu instid0(VALU_DEP_2) | instskip(NEXT) | instid1(VALU_DEP_1)
	v_cndmask_b32_e32 v4, v7, v4, vcc_lo
	v_add_f32_e32 v7, v4, v4
	s_delay_alu instid0(VALU_DEP_1) | instskip(SKIP_1) | instid1(VALU_DEP_2)
	v_div_scale_f32 v8, null, v7, v7, v6
	v_div_scale_f32 v11, vcc_lo, v6, v7, v6
	v_rcp_f32_e32 v9, v8
	s_waitcnt_depctr 0xfff
	v_fma_f32 v10, -v8, v9, 1.0
	s_delay_alu instid0(VALU_DEP_1) | instskip(NEXT) | instid1(VALU_DEP_1)
	v_fmac_f32_e32 v9, v10, v9
	v_mul_f32_e32 v10, v11, v9
	s_delay_alu instid0(VALU_DEP_1) | instskip(NEXT) | instid1(VALU_DEP_1)
	v_fma_f32 v12, -v8, v10, v11
	v_fmac_f32_e32 v10, v12, v9
	s_delay_alu instid0(VALU_DEP_1) | instskip(NEXT) | instid1(VALU_DEP_1)
	v_fma_f32 v8, -v8, v10, v11
	v_div_fmas_f32 v8, v8, v9, v10
	s_delay_alu instid0(VALU_DEP_1) | instskip(NEXT) | instid1(VALU_DEP_1)
	v_div_fixup_f32 v6, v8, v7, v6
	v_fma_f32 v7, v6, v6, 1.0
	s_delay_alu instid0(VALU_DEP_1) | instskip(SKIP_1) | instid1(VALU_DEP_2)
	v_mul_f32_e32 v8, 0x4f800000, v7
	v_cmp_gt_f32_e32 vcc_lo, 0xf800000, v7
	v_cndmask_b32_e32 v7, v7, v8, vcc_lo
	s_delay_alu instid0(VALU_DEP_1) | instskip(SKIP_3) | instid1(VALU_DEP_2)
	v_sqrt_f32_e32 v8, v7
	s_waitcnt_depctr 0xfff
	v_add_nc_u32_e32 v9, -1, v8
	v_add_nc_u32_e32 v10, 1, v8
	v_fma_f32 v11, -v9, v8, v7
	s_delay_alu instid0(VALU_DEP_2) | instskip(NEXT) | instid1(VALU_DEP_2)
	v_fma_f32 v12, -v10, v8, v7
	v_cmp_ge_f32_e64 s3, 0, v11
	s_delay_alu instid0(VALU_DEP_1) | instskip(NEXT) | instid1(VALU_DEP_3)
	v_cndmask_b32_e64 v8, v8, v9, s3
	v_cmp_lt_f32_e64 s3, 0, v12
	s_delay_alu instid0(VALU_DEP_1) | instskip(NEXT) | instid1(VALU_DEP_1)
	v_cndmask_b32_e64 v8, v8, v10, s3
	v_mul_f32_e32 v9, 0x37800000, v8
	s_delay_alu instid0(VALU_DEP_1) | instskip(SKIP_1) | instid1(VALU_DEP_2)
	v_cndmask_b32_e32 v8, v8, v9, vcc_lo
	v_cmp_class_f32_e64 vcc_lo, v7, 0x260
	v_cndmask_b32_e32 v7, v8, v7, vcc_lo
	v_cmp_nle_f32_e32 vcc_lo, 0, v6
	s_delay_alu instid0(VALU_DEP_2) | instskip(NEXT) | instid1(VALU_DEP_1)
	v_cndmask_b32_e64 v7, |v7|, -|v7|, vcc_lo
	v_add_f32_e32 v6, v6, v7
	s_delay_alu instid0(VALU_DEP_1) | instskip(SKIP_1) | instid1(VALU_DEP_2)
	v_div_scale_f32 v7, null, v6, v6, v4
	v_div_scale_f32 v10, vcc_lo, v4, v6, v4
	v_rcp_f32_e32 v8, v7
	s_waitcnt_depctr 0xfff
	v_fma_f32 v9, -v7, v8, 1.0
	s_delay_alu instid0(VALU_DEP_1) | instskip(NEXT) | instid1(VALU_DEP_1)
	v_fmac_f32_e32 v8, v9, v8
	v_mul_f32_e32 v9, v10, v8
	s_delay_alu instid0(VALU_DEP_1) | instskip(NEXT) | instid1(VALU_DEP_1)
	v_fma_f32 v11, -v7, v9, v10
	v_fmac_f32_e32 v9, v11, v8
	s_delay_alu instid0(VALU_DEP_1) | instskip(NEXT) | instid1(VALU_DEP_1)
	v_fma_f32 v7, -v7, v9, v10
	v_div_fmas_f32 v7, v7, v8, v9
	s_delay_alu instid0(VALU_DEP_1) | instskip(SKIP_1) | instid1(VALU_DEP_2)
	v_div_fixup_f32 v4, v7, v6, v4
	v_mov_b32_e32 v6, 0
	v_sub_f32_e32 v4, v3, v4
	s_delay_alu instid0(VALU_DEP_1) | instskip(NEXT) | instid1(VALU_DEP_1)
	v_sub_f32_e32 v7, v5, v4
	v_mul_f32_e32 v8, v7, v7
	s_cbranch_scc1 .LBB1_122
; %bb.107:                              ;   in Loop: Header=BB1_97 Depth=2
	s_add_u32 s36, s10, s36
	s_addc_u32 s37, s11, s37
	s_clause 0x1
	global_load_b32 v5, v1, s[36:37]
	global_load_b32 v10, v1, s[34:35] offset:4
	s_waitcnt vmcnt(1)
	v_add_f32_e32 v9, v8, v5
	s_delay_alu instid0(VALU_DEP_1) | instskip(NEXT) | instid1(VALU_DEP_1)
	v_div_scale_f32 v6, null, v9, v9, v8
	v_rcp_f32_e32 v12, v6
	s_waitcnt_depctr 0xfff
	v_fma_f32 v14, -v6, v12, 1.0
	s_delay_alu instid0(VALU_DEP_1) | instskip(SKIP_3) | instid1(VALU_DEP_3)
	v_fmac_f32_e32 v12, v14, v12
	v_div_scale_f32 v11, null, v9, v9, v5
	v_div_scale_f32 v16, vcc_lo, v8, v9, v8
	v_div_scale_f32 v14, s3, v5, v9, v5
	v_rcp_f32_e32 v13, v11
	s_waitcnt_depctr 0xfff
	v_fma_f32 v15, -v11, v13, 1.0
	s_delay_alu instid0(VALU_DEP_1) | instskip(SKIP_1) | instid1(VALU_DEP_2)
	v_fmac_f32_e32 v13, v15, v13
	v_mul_f32_e32 v15, v16, v12
	v_mul_f32_e32 v17, v14, v13
	s_delay_alu instid0(VALU_DEP_2) | instskip(NEXT) | instid1(VALU_DEP_2)
	v_fma_f32 v18, -v6, v15, v16
	v_fma_f32 v19, -v11, v17, v14
	s_delay_alu instid0(VALU_DEP_2) | instskip(NEXT) | instid1(VALU_DEP_2)
	v_fmac_f32_e32 v15, v18, v12
	v_fmac_f32_e32 v17, v19, v13
	s_delay_alu instid0(VALU_DEP_2) | instskip(NEXT) | instid1(VALU_DEP_2)
	v_fma_f32 v6, -v6, v15, v16
	v_fma_f32 v11, -v11, v17, v14
	s_delay_alu instid0(VALU_DEP_2) | instskip(SKIP_1) | instid1(VALU_DEP_2)
	v_div_fmas_f32 v12, v6, v12, v15
	s_mov_b32 vcc_lo, s3
	v_div_fmas_f32 v6, v11, v13, v17
	s_waitcnt vmcnt(0)
	v_sub_f32_e32 v11, v10, v4
	v_div_fixup_f32 v8, v12, v9, v8
	s_delay_alu instid0(VALU_DEP_3) | instskip(NEXT) | instid1(VALU_DEP_2)
	v_div_fixup_f32 v6, v6, v9, v5
	v_cmp_eq_f32_e32 vcc_lo, 0, v8
	s_delay_alu instid0(VALU_DEP_2) | instskip(SKIP_1) | instid1(VALU_DEP_1)
	v_mul_f32_e32 v9, v7, v6
	s_and_b32 vcc_lo, exec_lo, vcc_lo
	v_fma_f32 v9, v8, v11, -v9
	s_delay_alu instid0(VALU_DEP_1) | instskip(NEXT) | instid1(VALU_DEP_1)
	v_sub_f32_e32 v10, v10, v9
	v_add_f32_e32 v7, v7, v10
	global_store_b32 v1, v7, s[34:35]
	s_cbranch_vccnz .LBB1_109
; %bb.108:                              ;   in Loop: Header=BB1_97 Depth=2
	v_mul_f32_e32 v5, v9, v9
	s_delay_alu instid0(VALU_DEP_1) | instskip(NEXT) | instid1(VALU_DEP_1)
	v_div_scale_f32 v7, null, v8, v8, v5
	v_rcp_f32_e32 v10, v7
	s_waitcnt_depctr 0xfff
	v_fma_f32 v11, -v7, v10, 1.0
	s_delay_alu instid0(VALU_DEP_1) | instskip(SKIP_1) | instid1(VALU_DEP_1)
	v_fmac_f32_e32 v10, v11, v10
	v_div_scale_f32 v11, vcc_lo, v5, v8, v5
	v_mul_f32_e32 v12, v11, v10
	s_delay_alu instid0(VALU_DEP_1) | instskip(NEXT) | instid1(VALU_DEP_1)
	v_fma_f32 v13, -v7, v12, v11
	v_fmac_f32_e32 v12, v13, v10
	s_delay_alu instid0(VALU_DEP_1) | instskip(NEXT) | instid1(VALU_DEP_1)
	v_fma_f32 v7, -v7, v12, v11
	v_div_fmas_f32 v7, v7, v10, v12
	s_delay_alu instid0(VALU_DEP_1)
	v_div_fixup_f32 v5, v7, v8, v5
.LBB1_109:                              ;   in Loop: Header=BB1_97 Depth=2
	s_add_i32 s34, s28, 1
	s_delay_alu instid0(SALU_CYCLE_1)
	s_cmp_ge_i32 s34, s26
	s_cbranch_scc1 .LBB1_120
; %bb.110:                              ;   in Loop: Header=BB1_97 Depth=2
	s_ashr_i32 s35, s34, 31
	s_mov_b32 s29, 1
	s_lshl_b64 s[36:37], s[34:35], 2
	s_delay_alu instid0(SALU_CYCLE_1)
	s_add_u32 s34, s53, s36
	s_addc_u32 s35, s54, s37
	s_add_u32 s36, s59, s36
	s_addc_u32 s37, s60, s37
	global_load_b32 v10, v1, s[34:35]
	s_cmp_eq_u32 s29, 0
	s_waitcnt vmcnt(0)
	v_add_f32_e32 v7, v5, v10
	s_cbranch_scc1 .LBB1_112
.LBB1_111:                              ;   in Loop: Header=BB1_97 Depth=2
	s_delay_alu instid0(VALU_DEP_1)
	v_mul_f32_e32 v6, v6, v7
	global_store_b32 v1, v6, s[34:35] offset:-4
.LBB1_112:                              ;   Parent Loop BB1_4 Depth=1
                                        ;     Parent Loop BB1_97 Depth=2
                                        ; =>    This Inner Loop Header: Depth=3
	global_load_b32 v12, v1, s[36:37]
	v_div_scale_f32 v6, null, v7, v7, v5
	v_div_scale_f32 v11, null, v7, v7, v10
	v_div_scale_f32 v17, vcc_lo, v5, v7, v5
	s_delay_alu instid0(VALU_DEP_3) | instskip(NEXT) | instid1(VALU_DEP_2)
	v_rcp_f32_e32 v13, v6
	v_rcp_f32_e32 v14, v11
	s_waitcnt_depctr 0xfff
	v_fma_f32 v15, -v6, v13, 1.0
	v_fma_f32 v16, -v11, v14, 1.0
	s_delay_alu instid0(VALU_DEP_1) | instskip(SKIP_1) | instid1(VALU_DEP_2)
	v_dual_fmac_f32 v13, v15, v13 :: v_dual_fmac_f32 v14, v16, v14
	v_div_scale_f32 v15, s3, v10, v7, v10
	v_mul_f32_e32 v16, v17, v13
	s_delay_alu instid0(VALU_DEP_2) | instskip(NEXT) | instid1(VALU_DEP_2)
	v_mul_f32_e32 v18, v15, v14
	v_fma_f32 v19, -v6, v16, v17
	s_delay_alu instid0(VALU_DEP_2) | instskip(NEXT) | instid1(VALU_DEP_2)
	v_fma_f32 v20, -v11, v18, v15
	v_fmac_f32_e32 v16, v19, v13
	s_delay_alu instid0(VALU_DEP_2) | instskip(NEXT) | instid1(VALU_DEP_2)
	v_fmac_f32_e32 v18, v20, v14
	v_fma_f32 v6, -v6, v16, v17
	s_delay_alu instid0(VALU_DEP_2) | instskip(NEXT) | instid1(VALU_DEP_2)
	v_fma_f32 v11, -v11, v18, v15
	v_div_fmas_f32 v13, v6, v13, v16
	s_mov_b32 vcc_lo, s3
	s_delay_alu instid0(VALU_DEP_2) | instskip(NEXT) | instid1(VALU_DEP_2)
	v_div_fmas_f32 v6, v11, v14, v18
	v_div_fixup_f32 v11, v13, v7, v5
	s_delay_alu instid0(VALU_DEP_2) | instskip(NEXT) | instid1(VALU_DEP_2)
	v_div_fixup_f32 v6, v6, v7, v10
	v_cmp_eq_f32_e32 vcc_lo, 0, v11
	s_delay_alu instid0(VALU_DEP_2) | instskip(SKIP_3) | instid1(VALU_DEP_1)
	v_mul_f32_e32 v5, v9, v6
	s_and_b32 vcc_lo, exec_lo, vcc_lo
	s_waitcnt vmcnt(0)
	v_sub_f32_e32 v7, v12, v4
	v_fma_f32 v7, v11, v7, -v5
	s_delay_alu instid0(VALU_DEP_1) | instskip(NEXT) | instid1(VALU_DEP_1)
	v_sub_f32_e32 v5, v12, v7
	v_add_f32_e32 v5, v9, v5
	global_store_b32 v1, v5, s[36:37] offset:-4
	s_cbranch_vccz .LBB1_117
; %bb.113:                              ;   in Loop: Header=BB1_112 Depth=3
	v_mul_f32_e32 v5, v8, v10
	s_cbranch_execnz .LBB1_115
.LBB1_114:                              ;   in Loop: Header=BB1_112 Depth=3
	v_mul_f32_e32 v5, v7, v7
	s_delay_alu instid0(VALU_DEP_1) | instskip(NEXT) | instid1(VALU_DEP_1)
	v_div_scale_f32 v8, null, v11, v11, v5
	v_rcp_f32_e32 v9, v8
	s_waitcnt_depctr 0xfff
	v_fma_f32 v10, -v8, v9, 1.0
	s_delay_alu instid0(VALU_DEP_1) | instskip(SKIP_1) | instid1(VALU_DEP_1)
	v_fmac_f32_e32 v9, v10, v9
	v_div_scale_f32 v10, vcc_lo, v5, v11, v5
	v_mul_f32_e32 v12, v10, v9
	s_delay_alu instid0(VALU_DEP_1) | instskip(NEXT) | instid1(VALU_DEP_1)
	v_fma_f32 v13, -v8, v12, v10
	v_fmac_f32_e32 v12, v13, v9
	s_delay_alu instid0(VALU_DEP_1) | instskip(NEXT) | instid1(VALU_DEP_1)
	v_fma_f32 v8, -v8, v12, v10
	v_div_fmas_f32 v8, v8, v9, v12
	s_delay_alu instid0(VALU_DEP_1)
	v_div_fixup_f32 v5, v8, v11, v5
.LBB1_115:                              ;   in Loop: Header=BB1_112 Depth=3
	s_add_i32 s29, s29, 1
	s_delay_alu instid0(SALU_CYCLE_1)
	s_add_i32 s3, s28, s29
	s_add_u32 s34, s34, 4
	s_addc_u32 s35, s35, 0
	s_add_u32 s36, s36, 4
	s_addc_u32 s37, s37, 0
	s_cmp_ge_i32 s3, s26
	s_cbranch_scc1 .LBB1_121
; %bb.116:                              ;   in Loop: Header=BB1_112 Depth=3
	v_mov_b32_e32 v8, v11
	v_mov_b32_e32 v9, v7
	global_load_b32 v10, v1, s[34:35]
	s_cmp_eq_u32 s29, 0
	s_waitcnt vmcnt(0)
	v_add_f32_e32 v7, v5, v10
	s_cbranch_scc0 .LBB1_111
	s_branch .LBB1_112
.LBB1_117:                              ;   in Loop: Header=BB1_112 Depth=3
                                        ; implicit-def: $vgpr5
	s_branch .LBB1_114
.LBB1_118:                              ;   in Loop: Header=BB1_97 Depth=2
                                        ; implicit-def: $sgpr29
	s_cbranch_execz .LBB1_96
	s_branch .LBB1_142
.LBB1_119:                              ;   in Loop: Header=BB1_97 Depth=2
	s_mov_b32 s34, 0
                                        ; implicit-def: $sgpr29
                                        ; implicit-def: $sgpr3
                                        ; implicit-def: $sgpr35
	s_cbranch_execnz .LBB1_124
	s_branch .LBB1_141
.LBB1_120:                              ;   in Loop: Header=BB1_97 Depth=2
	v_mov_b32_e32 v7, v9
.LBB1_121:                              ;   in Loop: Header=BB1_97 Depth=2
	v_mov_b32_e32 v8, v5
.LBB1_122:                              ;   in Loop: Header=BB1_97 Depth=2
	s_delay_alu instid0(VALU_DEP_1) | instskip(NEXT) | instid1(VALU_DEP_3)
	v_mul_f32_e32 v5, v8, v6
	v_add_f32_e32 v4, v4, v7
	s_add_i32 s35, s64, 1
	s_mov_b32 s34, -1
	s_clause 0x1
	global_store_b32 v1, v5, s[30:31]
	global_store_b32 v1, v4, s[4:5]
.LBB1_123:                              ;   in Loop: Header=BB1_97 Depth=2
	s_mov_b32 s29, s16
	s_mov_b32 s3, s26
	s_and_b32 vcc_lo, exec_lo, s38
	s_cbranch_vccz .LBB1_141
.LBB1_124:                              ;   in Loop: Header=BB1_97 Depth=2
	s_ashr_i32 s29, s28, 31
	s_delay_alu instid0(SALU_CYCLE_1) | instskip(NEXT) | instid1(SALU_CYCLE_1)
	s_lshl_b64 s[30:31], s[28:29], 2
	s_add_u32 s28, s10, s30
	s_addc_u32 s29, s11, s31
	s_add_u32 s30, s46, s30
	global_load_b32 v4, v1, s[28:29]
	s_addc_u32 s31, s47, s31
	global_load_b32 v5, v1, s[30:31]
	s_waitcnt vmcnt(1)
	v_mul_f32_e32 v6, 0x4f800000, v4
	v_cmp_gt_f32_e32 vcc_lo, 0xf800000, v4
	s_delay_alu instid0(VALU_DEP_2) | instskip(NEXT) | instid1(VALU_DEP_1)
	v_cndmask_b32_e32 v4, v4, v6, vcc_lo
	v_sqrt_f32_e32 v6, v4
	s_waitcnt_depctr 0xfff
	v_add_nc_u32_e32 v7, -1, v6
	v_add_nc_u32_e32 v8, 1, v6
	s_delay_alu instid0(VALU_DEP_2) | instskip(NEXT) | instid1(VALU_DEP_2)
	v_fma_f32 v9, -v7, v6, v4
	v_fma_f32 v10, -v8, v6, v4
	s_delay_alu instid0(VALU_DEP_2) | instskip(NEXT) | instid1(VALU_DEP_1)
	v_cmp_ge_f32_e64 s3, 0, v9
	v_cndmask_b32_e64 v6, v6, v7, s3
	s_delay_alu instid0(VALU_DEP_3) | instskip(NEXT) | instid1(VALU_DEP_1)
	v_cmp_lt_f32_e64 s3, 0, v10
	v_cndmask_b32_e64 v6, v6, v8, s3
	s_delay_alu instid0(VALU_DEP_1) | instskip(NEXT) | instid1(VALU_DEP_1)
	v_mul_f32_e32 v7, 0x37800000, v6
	v_cndmask_b32_e32 v6, v6, v7, vcc_lo
	v_cmp_class_f32_e64 vcc_lo, v4, 0x260
	s_waitcnt vmcnt(0)
	s_delay_alu instid0(VALU_DEP_2) | instskip(NEXT) | instid1(VALU_DEP_1)
	v_dual_sub_f32 v7, v3, v5 :: v_dual_cndmask_b32 v4, v6, v4
	v_add_f32_e32 v8, v4, v4
	s_delay_alu instid0(VALU_DEP_1) | instskip(SKIP_1) | instid1(VALU_DEP_2)
	v_cmp_ngt_f32_e64 s3, |v7|, |v8|
	v_and_b32_e32 v9, 0x7fffffff, v8
	s_and_b32 vcc_lo, exec_lo, s3
	s_cbranch_vccz .LBB1_127
; %bb.125:                              ;   in Loop: Header=BB1_97 Depth=2
	v_cmp_nlt_f32_e64 s3, |v7|, |v8|
	s_delay_alu instid0(VALU_DEP_1)
	s_and_b32 vcc_lo, exec_lo, s3
	s_cbranch_vccz .LBB1_128
; %bb.126:                              ;   in Loop: Header=BB1_97 Depth=2
	v_cvt_f64_f32_e32 v[10:11], v9
	s_delay_alu instid0(VALU_DEP_1) | instskip(NEXT) | instid1(VALU_DEP_1)
	v_mul_f64 v[10:11], v[10:11], s[12:13]
	v_cvt_f32_f64_e32 v6, v[10:11]
	s_cbranch_execz .LBB1_129
	s_branch .LBB1_130
.LBB1_127:                              ;   in Loop: Header=BB1_97 Depth=2
                                        ; implicit-def: $vgpr6
	s_branch .LBB1_131
.LBB1_128:                              ;   in Loop: Header=BB1_97 Depth=2
                                        ; implicit-def: $vgpr6
.LBB1_129:                              ;   in Loop: Header=BB1_97 Depth=2
	v_and_b32_e32 v6, 0x7fffffff, v7
	s_delay_alu instid0(VALU_DEP_1) | instskip(SKIP_1) | instid1(VALU_DEP_2)
	v_div_scale_f32 v10, null, v9, v9, v6
	v_div_scale_f32 v6, vcc_lo, v6, v9, v6
	v_rcp_f32_e32 v11, v10
	s_waitcnt_depctr 0xfff
	v_fma_f32 v12, -v10, v11, 1.0
	s_delay_alu instid0(VALU_DEP_1) | instskip(NEXT) | instid1(VALU_DEP_1)
	v_fmac_f32_e32 v11, v12, v11
	v_mul_f32_e32 v12, v6, v11
	s_delay_alu instid0(VALU_DEP_1) | instskip(NEXT) | instid1(VALU_DEP_1)
	v_fma_f32 v13, -v10, v12, v6
	v_fmac_f32_e32 v12, v13, v11
	s_delay_alu instid0(VALU_DEP_1) | instskip(NEXT) | instid1(VALU_DEP_1)
	v_fma_f32 v6, -v10, v12, v6
	v_div_fmas_f32 v6, v6, v11, v12
	s_delay_alu instid0(VALU_DEP_1) | instskip(NEXT) | instid1(VALU_DEP_1)
	v_div_fixup_f32 v6, v6, |v8|, |v7|
	v_fma_f32 v6, v6, v6, 1.0
	s_delay_alu instid0(VALU_DEP_1) | instskip(SKIP_1) | instid1(VALU_DEP_2)
	v_mul_f32_e32 v10, 0x4f800000, v6
	v_cmp_gt_f32_e32 vcc_lo, 0xf800000, v6
	v_cndmask_b32_e32 v6, v6, v10, vcc_lo
	s_delay_alu instid0(VALU_DEP_1) | instskip(SKIP_3) | instid1(VALU_DEP_2)
	v_sqrt_f32_e32 v10, v6
	s_waitcnt_depctr 0xfff
	v_add_nc_u32_e32 v11, -1, v10
	v_add_nc_u32_e32 v12, 1, v10
	v_fma_f32 v13, -v11, v10, v6
	s_delay_alu instid0(VALU_DEP_2) | instskip(NEXT) | instid1(VALU_DEP_2)
	v_fma_f32 v14, -v12, v10, v6
	v_cmp_ge_f32_e64 s3, 0, v13
	s_delay_alu instid0(VALU_DEP_1) | instskip(NEXT) | instid1(VALU_DEP_3)
	v_cndmask_b32_e64 v10, v10, v11, s3
	v_cmp_lt_f32_e64 s3, 0, v14
	s_delay_alu instid0(VALU_DEP_1) | instskip(NEXT) | instid1(VALU_DEP_1)
	v_cndmask_b32_e64 v10, v10, v12, s3
	v_mul_f32_e32 v11, 0x37800000, v10
	s_delay_alu instid0(VALU_DEP_1) | instskip(SKIP_1) | instid1(VALU_DEP_2)
	v_cndmask_b32_e32 v10, v10, v11, vcc_lo
	v_cmp_class_f32_e64 vcc_lo, v6, 0x260
	v_cndmask_b32_e32 v6, v10, v6, vcc_lo
	s_delay_alu instid0(VALU_DEP_1)
	v_mul_f32_e64 v6, |v8|, v6
.LBB1_130:                              ;   in Loop: Header=BB1_97 Depth=2
	s_cbranch_execnz .LBB1_132
.LBB1_131:                              ;   in Loop: Header=BB1_97 Depth=2
	v_and_b32_e32 v6, 0x7fffffff, v7
	s_delay_alu instid0(VALU_DEP_1) | instskip(SKIP_1) | instid1(VALU_DEP_2)
	v_div_scale_f32 v10, null, v6, v6, v9
	v_div_scale_f32 v6, vcc_lo, v9, v6, v9
	v_rcp_f32_e32 v11, v10
	s_waitcnt_depctr 0xfff
	v_fma_f32 v12, -v10, v11, 1.0
	s_delay_alu instid0(VALU_DEP_1) | instskip(NEXT) | instid1(VALU_DEP_1)
	v_fmac_f32_e32 v11, v12, v11
	v_mul_f32_e32 v9, v6, v11
	s_delay_alu instid0(VALU_DEP_1) | instskip(NEXT) | instid1(VALU_DEP_1)
	v_fma_f32 v12, -v10, v9, v6
	v_fmac_f32_e32 v9, v12, v11
	s_delay_alu instid0(VALU_DEP_1) | instskip(NEXT) | instid1(VALU_DEP_1)
	v_fma_f32 v6, -v10, v9, v6
	v_div_fmas_f32 v6, v6, v11, v9
	s_delay_alu instid0(VALU_DEP_1) | instskip(NEXT) | instid1(VALU_DEP_1)
	v_div_fixup_f32 v6, v6, |v7|, |v8|
	v_fma_f32 v6, v6, v6, 1.0
	s_delay_alu instid0(VALU_DEP_1) | instskip(SKIP_1) | instid1(VALU_DEP_2)
	v_mul_f32_e32 v8, 0x4f800000, v6
	v_cmp_gt_f32_e32 vcc_lo, 0xf800000, v6
	v_cndmask_b32_e32 v6, v6, v8, vcc_lo
	s_delay_alu instid0(VALU_DEP_1) | instskip(SKIP_3) | instid1(VALU_DEP_2)
	v_sqrt_f32_e32 v8, v6
	s_waitcnt_depctr 0xfff
	v_add_nc_u32_e32 v9, -1, v8
	v_add_nc_u32_e32 v10, 1, v8
	v_fma_f32 v11, -v9, v8, v6
	s_delay_alu instid0(VALU_DEP_2) | instskip(NEXT) | instid1(VALU_DEP_2)
	v_fma_f32 v12, -v10, v8, v6
	v_cmp_ge_f32_e64 s3, 0, v11
	s_delay_alu instid0(VALU_DEP_1) | instskip(NEXT) | instid1(VALU_DEP_3)
	v_cndmask_b32_e64 v8, v8, v9, s3
	v_cmp_lt_f32_e64 s3, 0, v12
	s_delay_alu instid0(VALU_DEP_1) | instskip(NEXT) | instid1(VALU_DEP_1)
	v_cndmask_b32_e64 v8, v8, v10, s3
	v_mul_f32_e32 v9, 0x37800000, v8
	s_delay_alu instid0(VALU_DEP_1) | instskip(SKIP_1) | instid1(VALU_DEP_2)
	v_cndmask_b32_e32 v8, v8, v9, vcc_lo
	v_cmp_class_f32_e64 vcc_lo, v6, 0x260
	v_cndmask_b32_e32 v6, v8, v6, vcc_lo
	s_delay_alu instid0(VALU_DEP_1)
	v_mul_f32_e64 v6, |v7|, v6
.LBB1_132:                              ;   in Loop: Header=BB1_97 Depth=2
	v_cmp_gt_f32_e64 vcc_lo, |v3|, |v5|
	v_add_f32_e32 v8, v3, v5
	v_cndmask_b32_e32 v7, v3, v5, vcc_lo
	v_cndmask_b32_e32 v5, v5, v3, vcc_lo
	s_delay_alu instid0(VALU_DEP_3) | instskip(NEXT) | instid1(VALU_DEP_1)
	v_cmp_ngt_f32_e64 s3, 0, v8
	s_and_b32 vcc_lo, exec_lo, s3
	s_cbranch_vccz .LBB1_135
; %bb.133:                              ;   in Loop: Header=BB1_97 Depth=2
	v_cmp_nlt_f32_e32 vcc_lo, 0, v8
	s_cbranch_vccz .LBB1_136
; %bb.134:                              ;   in Loop: Header=BB1_97 Depth=2
	v_mul_f32_e32 v3, 0.5, v6
	v_mul_f32_e32 v9, -0.5, v6
	s_cbranch_execz .LBB1_137
	s_branch .LBB1_138
.LBB1_135:                              ;   in Loop: Header=BB1_97 Depth=2
                                        ; implicit-def: $vgpr9
                                        ; implicit-def: $vgpr3
	s_branch .LBB1_139
.LBB1_136:                              ;   in Loop: Header=BB1_97 Depth=2
                                        ; implicit-def: $vgpr9
                                        ; implicit-def: $vgpr3
.LBB1_137:                              ;   in Loop: Header=BB1_97 Depth=2
	v_add_f32_e32 v3, v8, v6
	v_cvt_f64_f32_e32 v[9:10], v5
	v_cvt_f64_f32_e32 v[13:14], v4
	s_delay_alu instid0(VALU_DEP_3) | instskip(NEXT) | instid1(VALU_DEP_1)
	v_mul_f32_e32 v3, 0.5, v3
	v_cvt_f64_f32_e32 v[11:12], v3
	s_delay_alu instid0(VALU_DEP_1) | instskip(NEXT) | instid1(VALU_DEP_4)
	v_div_scale_f64 v[15:16], null, v[11:12], v[11:12], v[9:10]
	v_div_scale_f64 v[17:18], null, v[11:12], v[11:12], v[13:14]
	v_div_scale_f64 v[27:28], vcc_lo, v[9:10], v[11:12], v[9:10]
	s_delay_alu instid0(VALU_DEP_3) | instskip(NEXT) | instid1(VALU_DEP_2)
	v_rcp_f64_e32 v[19:20], v[15:16]
	v_rcp_f64_e32 v[21:22], v[17:18]
	s_waitcnt_depctr 0xfff
	v_fma_f64 v[23:24], -v[15:16], v[19:20], 1.0
	v_fma_f64 v[25:26], -v[17:18], v[21:22], 1.0
	s_delay_alu instid0(VALU_DEP_2) | instskip(NEXT) | instid1(VALU_DEP_2)
	v_fma_f64 v[19:20], v[19:20], v[23:24], v[19:20]
	v_fma_f64 v[21:22], v[21:22], v[25:26], v[21:22]
	s_delay_alu instid0(VALU_DEP_2) | instskip(NEXT) | instid1(VALU_DEP_2)
	v_fma_f64 v[23:24], -v[15:16], v[19:20], 1.0
	v_fma_f64 v[25:26], -v[17:18], v[21:22], 1.0
	s_delay_alu instid0(VALU_DEP_2) | instskip(SKIP_1) | instid1(VALU_DEP_3)
	v_fma_f64 v[19:20], v[19:20], v[23:24], v[19:20]
	v_div_scale_f64 v[23:24], s3, v[13:14], v[11:12], v[13:14]
	v_fma_f64 v[21:22], v[21:22], v[25:26], v[21:22]
	s_delay_alu instid0(VALU_DEP_3) | instskip(NEXT) | instid1(VALU_DEP_2)
	v_mul_f64 v[25:26], v[27:28], v[19:20]
	v_mul_f64 v[29:30], v[23:24], v[21:22]
	s_delay_alu instid0(VALU_DEP_2) | instskip(NEXT) | instid1(VALU_DEP_2)
	v_fma_f64 v[15:16], -v[15:16], v[25:26], v[27:28]
	v_fma_f64 v[17:18], -v[17:18], v[29:30], v[23:24]
	s_delay_alu instid0(VALU_DEP_2) | instskip(SKIP_1) | instid1(VALU_DEP_2)
	v_div_fmas_f64 v[15:16], v[15:16], v[19:20], v[25:26]
	s_mov_b32 vcc_lo, s3
	v_div_fmas_f64 v[17:18], v[17:18], v[21:22], v[29:30]
	s_delay_alu instid0(VALU_DEP_2) | instskip(NEXT) | instid1(VALU_DEP_2)
	v_div_fixup_f64 v[9:10], v[15:16], v[11:12], v[9:10]
	v_div_fixup_f64 v[17:18], v[17:18], v[11:12], v[13:14]
	v_cvt_f64_f32_e32 v[11:12], v7
	s_delay_alu instid0(VALU_DEP_2) | instskip(NEXT) | instid1(VALU_DEP_1)
	v_mul_f64 v[13:14], v[17:18], v[13:14]
	v_fma_f64 v[9:10], v[9:10], v[11:12], -v[13:14]
	s_delay_alu instid0(VALU_DEP_1)
	v_cvt_f32_f64_e32 v9, v[9:10]
.LBB1_138:                              ;   in Loop: Header=BB1_97 Depth=2
	s_cbranch_execnz .LBB1_140
.LBB1_139:                              ;   in Loop: Header=BB1_97 Depth=2
	v_sub_f32_e32 v3, v8, v6
	v_cvt_f64_f32_e32 v[5:6], v5
	v_cvt_f64_f32_e32 v[10:11], v4
	s_delay_alu instid0(VALU_DEP_3) | instskip(NEXT) | instid1(VALU_DEP_1)
	v_mul_f32_e32 v3, 0.5, v3
	v_cvt_f64_f32_e32 v[8:9], v3
	s_delay_alu instid0(VALU_DEP_1) | instskip(NEXT) | instid1(VALU_DEP_4)
	v_div_scale_f64 v[12:13], null, v[8:9], v[8:9], v[5:6]
	v_div_scale_f64 v[14:15], null, v[8:9], v[8:9], v[10:11]
	v_div_scale_f64 v[24:25], vcc_lo, v[5:6], v[8:9], v[5:6]
	s_delay_alu instid0(VALU_DEP_3) | instskip(NEXT) | instid1(VALU_DEP_2)
	v_rcp_f64_e32 v[16:17], v[12:13]
	v_rcp_f64_e32 v[18:19], v[14:15]
	s_waitcnt_depctr 0xfff
	v_fma_f64 v[20:21], -v[12:13], v[16:17], 1.0
	v_fma_f64 v[22:23], -v[14:15], v[18:19], 1.0
	s_delay_alu instid0(VALU_DEP_2) | instskip(NEXT) | instid1(VALU_DEP_2)
	v_fma_f64 v[16:17], v[16:17], v[20:21], v[16:17]
	v_fma_f64 v[18:19], v[18:19], v[22:23], v[18:19]
	s_delay_alu instid0(VALU_DEP_2) | instskip(NEXT) | instid1(VALU_DEP_2)
	v_fma_f64 v[20:21], -v[12:13], v[16:17], 1.0
	v_fma_f64 v[22:23], -v[14:15], v[18:19], 1.0
	s_delay_alu instid0(VALU_DEP_2) | instskip(SKIP_1) | instid1(VALU_DEP_3)
	v_fma_f64 v[16:17], v[16:17], v[20:21], v[16:17]
	v_div_scale_f64 v[20:21], s3, v[10:11], v[8:9], v[10:11]
	v_fma_f64 v[18:19], v[18:19], v[22:23], v[18:19]
	s_delay_alu instid0(VALU_DEP_3) | instskip(NEXT) | instid1(VALU_DEP_2)
	v_mul_f64 v[22:23], v[24:25], v[16:17]
	v_mul_f64 v[26:27], v[20:21], v[18:19]
	s_delay_alu instid0(VALU_DEP_2) | instskip(NEXT) | instid1(VALU_DEP_2)
	v_fma_f64 v[12:13], -v[12:13], v[22:23], v[24:25]
	v_fma_f64 v[14:15], -v[14:15], v[26:27], v[20:21]
	s_delay_alu instid0(VALU_DEP_2) | instskip(SKIP_1) | instid1(VALU_DEP_2)
	v_div_fmas_f64 v[12:13], v[12:13], v[16:17], v[22:23]
	s_mov_b32 vcc_lo, s3
	v_div_fmas_f64 v[14:15], v[14:15], v[18:19], v[26:27]
	s_delay_alu instid0(VALU_DEP_2) | instskip(SKIP_1) | instid1(VALU_DEP_3)
	v_div_fixup_f64 v[4:5], v[12:13], v[8:9], v[5:6]
	v_cvt_f64_f32_e32 v[6:7], v7
	v_div_fixup_f64 v[14:15], v[14:15], v[8:9], v[10:11]
	s_delay_alu instid0(VALU_DEP_1) | instskip(NEXT) | instid1(VALU_DEP_1)
	v_mul_f64 v[8:9], v[14:15], v[10:11]
	v_fma_f64 v[4:5], v[4:5], v[6:7], -v[8:9]
	s_delay_alu instid0(VALU_DEP_1)
	v_cvt_f32_f64_e32 v9, v[4:5]
.LBB1_140:                              ;   in Loop: Header=BB1_97 Depth=2
	s_add_i32 s3, s26, -2
	s_mov_b32 s34, -1
	s_mov_b32 s35, s64
	s_clause 0x2
	global_store_b32 v1, v3, s[4:5]
	global_store_b32 v1, v9, s[30:31]
	;; [unrolled: 1-line block ×3, first 2 shown]
                                        ; implicit-def: $sgpr29
.LBB1_141:                              ;   in Loop: Header=BB1_97 Depth=2
	s_mov_b32 s64, s35
	s_and_b32 vcc_lo, exec_lo, s34
	s_cbranch_vccz .LBB1_96
.LBB1_142:                              ;   in Loop: Header=BB1_97 Depth=2
	s_cmp_lt_i32 s3, s66
	s_mov_b32 s29, s64
	s_cselect_b32 s4, -1, 0
	s_cmp_ge_i32 s64, s16
	s_cselect_b32 s5, -1, 0
	s_delay_alu instid0(SALU_CYCLE_1)
	s_or_b32 s27, s4, s5
	s_branch .LBB1_96
.LBB1_143:                              ;   in Loop: Header=BB1_4 Depth=1
	s_mov_b32 s64, s29
.LBB1_144:                              ;   in Loop: Header=BB1_4 Depth=1
	s_delay_alu instid0(SALU_CYCLE_1)
	s_mov_b32 s35, s64
	v_cmp_lt_f32_e32 vcc_lo, s19, v2
	s_and_not1_b32 vcc_lo, exec_lo, vcc_lo
	s_cbranch_vccnz .LBB1_148
.LBB1_145:                              ;   in Loop: Header=BB1_4 Depth=1
	global_load_b32 v4, v1, s[24:25]
	s_waitcnt vmcnt(1)
	v_div_scale_f32 v3, null, v2, v2, s19
	s_delay_alu instid0(VALU_DEP_1) | instskip(SKIP_2) | instid1(VALU_DEP_1)
	v_rcp_f32_e32 v5, v3
	s_waitcnt_depctr 0xfff
	v_fma_f32 v6, -v3, v5, 1.0
	v_fmac_f32_e32 v5, v6, v5
	v_div_scale_f32 v6, vcc_lo, s19, v2, s19
	s_delay_alu instid0(VALU_DEP_1) | instskip(NEXT) | instid1(VALU_DEP_1)
	v_mul_f32_e32 v7, v6, v5
	v_fma_f32 v8, -v3, v7, v6
	s_delay_alu instid0(VALU_DEP_1) | instskip(NEXT) | instid1(VALU_DEP_1)
	v_fmac_f32_e32 v7, v8, v5
	v_fma_f32 v3, -v3, v7, v6
	s_delay_alu instid0(VALU_DEP_1) | instskip(SKIP_1) | instid1(VALU_DEP_1)
	v_div_fmas_f32 v3, v3, v5, v7
	s_and_b32 vcc_lo, exec_lo, s2
	v_div_fixup_f32 v3, v3, v2, s19
	s_waitcnt vmcnt(0)
	s_delay_alu instid0(VALU_DEP_1)
	v_mul_f32_e32 v4, v3, v4
	global_store_b32 v1, v4, s[24:25]
	s_cbranch_vccnz .LBB1_148
; %bb.146:                              ;   in Loop: Header=BB1_4 Depth=1
	s_add_u32 s4, s57, s22
	s_addc_u32 s5, s58, s23
	s_add_u32 s26, s53, s22
	s_addc_u32 s27, s54, s23
	s_mov_b32 s3, s65
	.p2align	6
.LBB1_147:                              ;   Parent Loop BB1_4 Depth=1
                                        ; =>  This Inner Loop Header: Depth=2
	global_load_b32 v4, v1, s[4:5]
	s_add_i32 s3, s3, 1
	s_waitcnt vmcnt(0)
	v_mul_f32_e32 v4, v3, v4
	global_store_b32 v1, v4, s[4:5]
	global_load_b32 v4, v1, s[26:27]
	s_add_u32 s4, s4, 4
	s_addc_u32 s5, s5, 0
	s_waitcnt vmcnt(0)
	v_mul_f32_e32 v4, v3, v4
	global_store_b32 v1, v4, s[26:27]
	s_add_u32 s26, s26, 4
	s_addc_u32 s27, s27, 0
	s_cmp_lt_i32 s3, s14
	s_cbranch_scc1 .LBB1_147
.LBB1_148:                              ;   in Loop: Header=BB1_4 Depth=1
	v_cmp_ngt_f32_e32 vcc_lo, s18, v2
	s_cbranch_vccnz .LBB1_2
; %bb.149:                              ;   in Loop: Header=BB1_4 Depth=1
	global_load_b32 v3, v1, s[24:25]
	v_div_scale_f32 v4, null, v2, v2, s18
	s_delay_alu instid0(VALU_DEP_1) | instskip(SKIP_2) | instid1(VALU_DEP_1)
	v_rcp_f32_e32 v5, v4
	s_waitcnt_depctr 0xfff
	v_fma_f32 v6, -v4, v5, 1.0
	v_fmac_f32_e32 v5, v6, v5
	v_div_scale_f32 v6, vcc_lo, s18, v2, s18
	s_delay_alu instid0(VALU_DEP_1) | instskip(NEXT) | instid1(VALU_DEP_1)
	v_mul_f32_e32 v7, v6, v5
	v_fma_f32 v8, -v4, v7, v6
	s_delay_alu instid0(VALU_DEP_1) | instskip(NEXT) | instid1(VALU_DEP_1)
	v_fmac_f32_e32 v7, v8, v5
	v_fma_f32 v4, -v4, v7, v6
	s_delay_alu instid0(VALU_DEP_1) | instskip(SKIP_1) | instid1(VALU_DEP_1)
	v_div_fmas_f32 v4, v4, v5, v7
	s_and_b32 vcc_lo, exec_lo, s2
	v_div_fixup_f32 v2, v4, v2, s18
	s_waitcnt vmcnt(0)
	s_delay_alu instid0(VALU_DEP_1)
	v_mul_f32_e32 v3, v2, v3
	global_store_b32 v1, v3, s[24:25]
	s_cbranch_vccnz .LBB1_2
; %bb.150:                              ;   in Loop: Header=BB1_4 Depth=1
	s_add_u32 s2, s57, s22
	s_addc_u32 s3, s58, s23
	s_add_u32 s4, s53, s22
	s_addc_u32 s5, s54, s23
	.p2align	6
.LBB1_151:                              ;   Parent Loop BB1_4 Depth=1
                                        ; =>  This Inner Loop Header: Depth=2
	global_load_b32 v3, v1, s[2:3]
	s_add_i32 s65, s65, 1
	s_waitcnt vmcnt(0)
	v_mul_f32_e32 v3, v2, v3
	global_store_b32 v1, v3, s[2:3]
	global_load_b32 v3, v1, s[4:5]
	s_add_u32 s2, s2, 4
	s_addc_u32 s3, s3, 0
	s_waitcnt vmcnt(0)
	v_mul_f32_e32 v3, v2, v3
	global_store_b32 v1, v3, s[4:5]
	s_add_u32 s4, s4, 4
	s_addc_u32 s5, s5, 0
	s_cmp_lt_i32 s65, s14
	s_cbranch_scc1 .LBB1_151
	s_branch .LBB1_2
.LBB1_152:
	s_cmp_lt_i32 s33, 2
	s_cbranch_scc1 .LBB1_163
; %bb.153:
	s_load_b64 s[0:1], s[0:1], 0x28
	s_lshl_b64 s[2:3], s[20:21], 2
	v_mov_b32_e32 v0, 0
	s_waitcnt lgkmcnt(0)
	s_add_u32 s0, s0, s2
	s_addc_u32 s1, s1, s3
	s_mov_b32 s2, 1
	s_branch .LBB1_155
.LBB1_154:                              ;   in Loop: Header=BB1_155 Depth=1
	s_add_i32 s2, s2, 1
	s_add_u32 s10, s10, 4
	s_addc_u32 s11, s11, 0
	s_cmp_lg_u32 s33, s2
	s_cbranch_scc0 .LBB1_157
.LBB1_155:                              ; =>This Inner Loop Header: Depth=1
	global_load_b32 v1, v0, s[10:11]
	s_waitcnt vmcnt(0)
	v_cmp_eq_f32_e32 vcc_lo, 0, v1
	s_cbranch_vccnz .LBB1_154
; %bb.156:                              ;   in Loop: Header=BB1_155 Depth=1
	global_load_b32 v1, v0, s[0:1]
	s_waitcnt vmcnt(0)
	v_add_nc_u32_e32 v1, 1, v1
	global_store_b32 v0, v1, s[0:1]
	s_branch .LBB1_154
.LBB1_157:
	s_add_u32 s10, s46, -4
	s_addc_u32 s11, s47, -1
	s_add_u32 s0, s6, s8
	v_mov_b32_e32 v0, 0
	s_addc_u32 s1, s7, s9
	s_add_u32 s0, s0, 4
	s_addc_u32 s1, s1, 0
	s_mov_b32 s2, 1
	s_set_inst_prefetch_distance 0x1
	s_branch .LBB1_159
	.p2align	6
.LBB1_158:                              ;   in Loop: Header=BB1_159 Depth=1
	s_add_i32 s2, s2, 1
	s_add_u32 s0, s0, 4
	s_addc_u32 s1, s1, 0
	s_cmp_lg_u32 s2, s33
	s_cbranch_scc0 .LBB1_163
.LBB1_159:                              ; =>This Loop Header: Depth=1
                                        ;     Child Loop BB1_160 Depth 2
	s_ashr_i32 s3, s2, 31
	s_mov_b64 s[8:9], s[0:1]
	s_lshl_b64 s[4:5], s[2:3], 2
	s_add_i32 s3, s2, -1
	s_add_u32 s4, s10, s4
	s_addc_u32 s5, s11, s5
	s_mov_b32 s7, s2
	global_load_b32 v1, v0, s[4:5]
	s_mov_b32 s6, s3
	s_waitcnt vmcnt(0)
	v_mov_b32_e32 v2, v1
.LBB1_160:                              ;   Parent Loop BB1_159 Depth=1
                                        ; =>  This Inner Loop Header: Depth=2
	global_load_b32 v3, v0, s[8:9]
	s_waitcnt vmcnt(0)
	v_cmp_lt_f32_e32 vcc_lo, v3, v2
	s_and_b32 s12, vcc_lo, exec_lo
	v_cndmask_b32_e32 v2, v2, v3, vcc_lo
	s_cselect_b32 s6, s7, s6
	s_add_i32 s7, s7, 1
	s_add_u32 s8, s8, 4
	s_addc_u32 s9, s9, 0
	s_cmp_ge_i32 s7, s33
	s_cbranch_scc0 .LBB1_160
; %bb.161:                              ;   in Loop: Header=BB1_159 Depth=1
	s_cmp_lg_u32 s6, s3
	s_cbranch_scc0 .LBB1_158
; %bb.162:                              ;   in Loop: Header=BB1_159 Depth=1
	s_ashr_i32 s7, s6, 31
	s_delay_alu instid0(SALU_CYCLE_1) | instskip(NEXT) | instid1(SALU_CYCLE_1)
	s_lshl_b64 s[6:7], s[6:7], 2
	s_add_u32 s6, s46, s6
	s_addc_u32 s7, s47, s7
	s_clause 0x1
	global_store_b32 v0, v1, s[6:7]
	global_store_b32 v0, v2, s[4:5]
	s_branch .LBB1_158
.LBB1_163:
	s_set_inst_prefetch_distance 0x2
	s_nop 0
	s_sendmsg sendmsg(MSG_DEALLOC_VGPRS)
	s_endpgm
	.section	.rodata,"a",@progbits
	.p2align	6, 0x0
	.amdhsa_kernel _ZN9rocsolver6v33100L12sterf_kernelIfEEviPT_lS3_lPiS4_iS2_S2_S2_
		.amdhsa_group_segment_fixed_size 0
		.amdhsa_private_segment_fixed_size 0
		.amdhsa_kernarg_size 72
		.amdhsa_user_sgpr_count 15
		.amdhsa_user_sgpr_dispatch_ptr 0
		.amdhsa_user_sgpr_queue_ptr 0
		.amdhsa_user_sgpr_kernarg_segment_ptr 1
		.amdhsa_user_sgpr_dispatch_id 0
		.amdhsa_user_sgpr_private_segment_size 0
		.amdhsa_wavefront_size32 1
		.amdhsa_uses_dynamic_stack 0
		.amdhsa_enable_private_segment 0
		.amdhsa_system_sgpr_workgroup_id_x 1
		.amdhsa_system_sgpr_workgroup_id_y 0
		.amdhsa_system_sgpr_workgroup_id_z 0
		.amdhsa_system_sgpr_workgroup_info 0
		.amdhsa_system_vgpr_workitem_id 0
		.amdhsa_next_free_vgpr 31
		.amdhsa_next_free_sgpr 68
		.amdhsa_reserve_vcc 1
		.amdhsa_float_round_mode_32 0
		.amdhsa_float_round_mode_16_64 0
		.amdhsa_float_denorm_mode_32 3
		.amdhsa_float_denorm_mode_16_64 3
		.amdhsa_dx10_clamp 1
		.amdhsa_ieee_mode 1
		.amdhsa_fp16_overflow 0
		.amdhsa_workgroup_processor_mode 1
		.amdhsa_memory_ordered 1
		.amdhsa_forward_progress 0
		.amdhsa_shared_vgpr_count 0
		.amdhsa_exception_fp_ieee_invalid_op 0
		.amdhsa_exception_fp_denorm_src 0
		.amdhsa_exception_fp_ieee_div_zero 0
		.amdhsa_exception_fp_ieee_overflow 0
		.amdhsa_exception_fp_ieee_underflow 0
		.amdhsa_exception_fp_ieee_inexact 0
		.amdhsa_exception_int_div_zero 0
	.end_amdhsa_kernel
	.section	.text._ZN9rocsolver6v33100L12sterf_kernelIfEEviPT_lS3_lPiS4_iS2_S2_S2_,"axG",@progbits,_ZN9rocsolver6v33100L12sterf_kernelIfEEviPT_lS3_lPiS4_iS2_S2_S2_,comdat
.Lfunc_end1:
	.size	_ZN9rocsolver6v33100L12sterf_kernelIfEEviPT_lS3_lPiS4_iS2_S2_S2_, .Lfunc_end1-_ZN9rocsolver6v33100L12sterf_kernelIfEEviPT_lS3_lPiS4_iS2_S2_S2_
                                        ; -- End function
	.section	.AMDGPU.csdata,"",@progbits
; Kernel info:
; codeLenInByte = 9260
; NumSgprs: 70
; NumVgprs: 31
; ScratchSize: 0
; MemoryBound: 0
; FloatMode: 240
; IeeeMode: 1
; LDSByteSize: 0 bytes/workgroup (compile time only)
; SGPRBlocks: 8
; VGPRBlocks: 3
; NumSGPRsForWavesPerEU: 70
; NumVGPRsForWavesPerEU: 31
; Occupancy: 16
; WaveLimiterHint : 0
; COMPUTE_PGM_RSRC2:SCRATCH_EN: 0
; COMPUTE_PGM_RSRC2:USER_SGPR: 15
; COMPUTE_PGM_RSRC2:TRAP_HANDLER: 0
; COMPUTE_PGM_RSRC2:TGID_X_EN: 1
; COMPUTE_PGM_RSRC2:TGID_Y_EN: 0
; COMPUTE_PGM_RSRC2:TGID_Z_EN: 0
; COMPUTE_PGM_RSRC2:TIDIG_COMP_CNT: 0
	.section	.text._ZN9rocsolver6v33100L12sterf_kernelIdEEviPT_lS3_lPiS4_iS2_S2_S2_,"axG",@progbits,_ZN9rocsolver6v33100L12sterf_kernelIdEEviPT_lS3_lPiS4_iS2_S2_S2_,comdat
	.globl	_ZN9rocsolver6v33100L12sterf_kernelIdEEviPT_lS3_lPiS4_iS2_S2_S2_ ; -- Begin function _ZN9rocsolver6v33100L12sterf_kernelIdEEviPT_lS3_lPiS4_iS2_S2_S2_
	.p2align	8
	.type	_ZN9rocsolver6v33100L12sterf_kernelIdEEviPT_lS3_lPiS4_iS2_S2_S2_,@function
_ZN9rocsolver6v33100L12sterf_kernelIdEEviPT_lS3_lPiS4_iS2_S2_S2_: ; @_ZN9rocsolver6v33100L12sterf_kernelIdEEviPT_lS3_lPiS4_iS2_S2_S2_
; %bb.0:
	s_mov_b32 s20, s15
	s_clause 0x2
	s_load_b256 s[8:15], s[0:1], 0x8
	s_load_b32 s33, s[0:1], 0x0
	s_load_b32 s50, s[0:1], 0x38
	s_ashr_i32 s21, s20, 31
	s_waitcnt lgkmcnt(0)
	s_mul_i32 s3, s20, s11
	s_mul_hi_u32 s4, s20, s10
	s_mul_i32 s5, s21, s10
	s_add_i32 s3, s4, s3
	s_mul_i32 s2, s20, s10
	s_add_i32 s3, s3, s5
	s_mul_i32 s4, s20, s15
	s_lshl_b64 s[6:7], s[2:3], 3
	s_mul_hi_u32 s5, s20, s14
	s_add_u32 s48, s8, s6
	s_mul_i32 s3, s21, s14
	s_addc_u32 s49, s9, s7
	s_add_i32 s4, s5, s4
	s_mul_i32 s2, s20, s14
	s_add_i32 s3, s4, s3
	s_delay_alu instid0(SALU_CYCLE_1) | instskip(NEXT) | instid1(SALU_CYCLE_1)
	s_lshl_b64 s[2:3], s[2:3], 3
	s_add_u32 s10, s12, s2
	s_addc_u32 s11, s13, s3
	s_min_i32 s4, s33, s50
	s_delay_alu instid0(SALU_CYCLE_1)
	s_cmp_lt_i32 s4, 1
	s_cbranch_scc1 .LBB2_152
; %bb.1:
	s_clause 0x1
	s_load_b128 s[16:19], s[0:1], 0x40
	s_load_b64 s[14:15], s[0:1], 0x50
	s_add_i32 s51, s33, -1
	s_add_u32 s52, s10, -8
	s_addc_u32 s53, s11, -1
	s_add_u32 s54, s48, -8
	s_addc_u32 s55, s49, -1
	s_add_u32 s56, s12, s2
	s_addc_u32 s57, s13, s3
	s_add_u32 s58, s56, -8
	s_addc_u32 s59, s57, -1
	s_add_u32 s60, s8, s6
	s_addc_u32 s61, s9, s7
	s_add_u32 s62, s60, 8
	v_mov_b32_e32 v2, 0
	s_addc_u32 s63, s61, 0
	s_add_u32 s64, s56, 8
	s_mov_b32 s12, 0x667f3bcd
	s_addc_u32 s65, s57, 0
	s_mov_b32 s13, 0x3ff6a09e
	s_waitcnt lgkmcnt(0)
	v_mul_f64 v[0:1], s[16:17], s[16:17]
	s_mov_b32 s23, 0
	s_mov_b32 s66, 0
	;; [unrolled: 1-line block ×3, first 2 shown]
	s_branch .LBB2_4
.LBB2_2:                                ;   in Loop: Header=BB2_4 Depth=1
	s_cmp_ge_i32 s37, s50
	s_cselect_b32 s2, -1, 0
	s_cmp_ge_i32 s66, s33
	s_cselect_b32 s3, -1, 0
	s_delay_alu instid0(SALU_CYCLE_1)
	s_or_b32 s2, s3, s2
.LBB2_3:                                ;   in Loop: Header=BB2_4 Depth=1
	s_delay_alu instid0(SALU_CYCLE_1)
	s_and_b32 vcc_lo, exec_lo, s2
	s_mov_b32 s67, s37
	s_cbranch_vccnz .LBB2_152
.LBB2_4:                                ; =>This Loop Header: Depth=1
                                        ;     Child Loop BB2_6 Depth 2
                                        ;       Child Loop BB2_12 Depth 3
                                        ;       Child Loop BB2_19 Depth 3
                                        ;     Child Loop BB2_36 Depth 2
                                        ;     Child Loop BB2_30 Depth 2
	;; [unrolled: 1-line block ×4, first 2 shown]
                                        ;       Child Loop BB2_51 Depth 3
                                        ;       Child Loop BB2_63 Depth 3
                                        ;     Child Loop BB2_97 Depth 2
                                        ;       Child Loop BB2_99 Depth 3
                                        ;       Child Loop BB2_112 Depth 3
                                        ;     Child Loop BB2_147 Depth 2
                                        ;     Child Loop BB2_151 Depth 2
	s_mov_b32 s28, s66
	s_branch .LBB2_6
.LBB2_5:                                ;   in Loop: Header=BB2_6 Depth=2
	s_and_not1_b32 vcc_lo, exec_lo, s29
	s_mov_b32 s28, s66
	s_cbranch_vccz .LBB2_25
.LBB2_6:                                ;   Parent Loop BB2_4 Depth=1
                                        ; =>  This Loop Header: Depth=2
                                        ;       Child Loop BB2_12 Depth 3
                                        ;       Child Loop BB2_19 Depth 3
	s_cmp_gt_i32 s28, 0
	s_mov_b32 s29, -1
                                        ; implicit-def: $sgpr4_sgpr5
	s_cbranch_scc1 .LBB2_8
; %bb.7:                                ;   in Loop: Header=BB2_6 Depth=2
	s_mov_b32 s29, 0
	s_delay_alu instid0(SALU_CYCLE_1)
	s_mov_b64 s[4:5], s[28:29]
.LBB2_8:                                ;   in Loop: Header=BB2_6 Depth=2
	s_and_not1_b32 vcc_lo, exec_lo, s29
	s_cbranch_vccnz .LBB2_10
; %bb.9:                                ;   in Loop: Header=BB2_6 Depth=2
	s_mov_b32 s29, s23
	v_mov_b32_e32 v3, v2
	s_lshl_b64 s[2:3], s[28:29], 3
	s_mov_b64 s[4:5], s[28:29]
	s_add_u32 s2, s52, s2
	s_addc_u32 s3, s53, s3
	global_store_b64 v2, v[2:3], s[2:3]
.LBB2_10:                               ;   in Loop: Header=BB2_6 Depth=2
	s_lshl_b64 s[24:25], s[4:5], 3
	s_mov_b32 s66, s28
	s_add_u32 s2, s58, s24
	s_addc_u32 s3, s59, s25
	s_add_u32 s26, s62, s24
	s_addc_u32 s27, s63, s25
	s_branch .LBB2_12
.LBB2_11:                               ;   in Loop: Header=BB2_12 Depth=3
	s_delay_alu instid0(VALU_DEP_1)
	s_and_not1_b32 vcc_lo, exec_lo, s34
	s_cbranch_vccz .LBB2_14
.LBB2_12:                               ;   Parent Loop BB2_4 Depth=1
                                        ;     Parent Loop BB2_6 Depth=2
                                        ; =>    This Inner Loop Header: Depth=3
	s_mov_b32 s22, s66
	s_mov_b32 s29, -1
	s_cmp_ge_i32 s66, s51
	s_mov_b32 s34, -1
                                        ; implicit-def: $sgpr66
                                        ; implicit-def: $sgpr30_sgpr31
	s_cbranch_scc1 .LBB2_11
; %bb.13:                               ;   in Loop: Header=BB2_12 Depth=3
	s_clause 0x1
	global_load_b128 v[3:6], v2, s[26:27] offset:-8
	global_load_b64 v[19:20], v2, s[2:3] offset:8
	s_add_u32 s30, s2, 8
	s_addc_u32 s31, s3, 0
	s_waitcnt vmcnt(1)
	v_cmp_gt_f64_e64 s29, 0x10000000, |v[3:4]|
	v_cmp_gt_f64_e64 s34, 0x10000000, |v[5:6]|
	s_delay_alu instid0(VALU_DEP_2) | instskip(NEXT) | instid1(VALU_DEP_2)
	v_cndmask_b32_e64 v7, 0, 1, s29
	v_cndmask_b32_e64 v8, 0, 1, s34
	s_and_b32 s2, s29, exec_lo
	s_cselect_b32 s2, 0xffffff80, 0
	s_add_i32 s66, s22, 1
	v_lshlrev_b32_e32 v7, 8, v7
	s_and_b32 s3, s34, exec_lo
	s_cselect_b32 s3, 0xffffff80, 0
	s_add_u32 s26, s26, 8
	s_addc_u32 s27, s27, 0
	v_ldexp_f64 v[3:4], |v[3:4]|, v7
	s_mov_b32 s29, 0
	s_delay_alu instid0(VALU_DEP_1) | instskip(SKIP_1) | instid1(VALU_DEP_1)
	v_cmp_class_f64_e64 vcc_lo, v[3:4], 0x260
	v_lshlrev_b32_e32 v8, 8, v8
	v_ldexp_f64 v[5:6], |v[5:6]|, v8
	v_rsq_f64_e32 v[7:8], v[3:4]
	s_delay_alu instid0(VALU_DEP_1)
	v_rsq_f64_e32 v[9:10], v[5:6]
	s_waitcnt_depctr 0xfff
	v_mul_f64 v[11:12], v[3:4], v[7:8]
	v_mul_f64 v[7:8], v[7:8], 0.5
	v_mul_f64 v[13:14], v[5:6], v[9:10]
	v_mul_f64 v[9:10], v[9:10], 0.5
	s_delay_alu instid0(VALU_DEP_3) | instskip(NEXT) | instid1(VALU_DEP_2)
	v_fma_f64 v[15:16], -v[7:8], v[11:12], 0.5
	v_fma_f64 v[17:18], -v[9:10], v[13:14], 0.5
	s_delay_alu instid0(VALU_DEP_2) | instskip(SKIP_1) | instid1(VALU_DEP_3)
	v_fma_f64 v[11:12], v[11:12], v[15:16], v[11:12]
	v_fma_f64 v[7:8], v[7:8], v[15:16], v[7:8]
	;; [unrolled: 1-line block ×3, first 2 shown]
	s_delay_alu instid0(VALU_DEP_3) | instskip(SKIP_1) | instid1(VALU_DEP_3)
	v_fma_f64 v[15:16], -v[11:12], v[11:12], v[3:4]
	v_fma_f64 v[9:10], v[9:10], v[17:18], v[9:10]
	v_fma_f64 v[17:18], -v[13:14], v[13:14], v[5:6]
	s_delay_alu instid0(VALU_DEP_3) | instskip(NEXT) | instid1(VALU_DEP_2)
	v_fma_f64 v[11:12], v[15:16], v[7:8], v[11:12]
	v_fma_f64 v[13:14], v[17:18], v[9:10], v[13:14]
	s_delay_alu instid0(VALU_DEP_2) | instskip(NEXT) | instid1(VALU_DEP_2)
	v_fma_f64 v[15:16], -v[11:12], v[11:12], v[3:4]
	v_fma_f64 v[17:18], -v[13:14], v[13:14], v[5:6]
	s_delay_alu instid0(VALU_DEP_2) | instskip(NEXT) | instid1(VALU_DEP_2)
	v_fma_f64 v[7:8], v[15:16], v[7:8], v[11:12]
	v_fma_f64 v[9:10], v[17:18], v[9:10], v[13:14]
	s_delay_alu instid0(VALU_DEP_2) | instskip(SKIP_1) | instid1(VALU_DEP_3)
	v_ldexp_f64 v[7:8], v[7:8], s2
	v_cmp_class_f64_e64 s2, v[5:6], 0x260
	v_ldexp_f64 v[9:10], v[9:10], s3
	s_delay_alu instid0(VALU_DEP_3) | instskip(NEXT) | instid1(VALU_DEP_2)
	v_dual_cndmask_b32 v3, v7, v3 :: v_dual_cndmask_b32 v4, v8, v4
	v_cndmask_b32_e64 v6, v10, v6, s2
	s_delay_alu instid0(VALU_DEP_3) | instskip(SKIP_1) | instid1(VALU_DEP_1)
	v_cndmask_b32_e64 v5, v9, v5, s2
	s_mov_b64 s[2:3], s[30:31]
	v_mul_f64 v[3:4], v[3:4], v[5:6]
	s_delay_alu instid0(VALU_DEP_1) | instskip(SKIP_1) | instid1(VALU_DEP_1)
	v_mul_f64 v[3:4], v[3:4], s[16:17]
	s_waitcnt vmcnt(0)
	v_cmp_le_f64_e64 s34, |v[19:20]|, v[3:4]
	s_branch .LBB2_11
.LBB2_14:                               ;   in Loop: Header=BB2_6 Depth=2
	s_and_not1_b32 vcc_lo, exec_lo, s29
	s_mov_b32 s2, -1
	s_cbranch_vccnz .LBB2_21
; %bb.15:                               ;   in Loop: Header=BB2_6 Depth=2
	s_and_not1_b32 vcc_lo, exec_lo, s2
	s_cbranch_vccz .LBB2_22
.LBB2_16:                               ;   in Loop: Header=BB2_6 Depth=2
	s_cmp_lg_u32 s22, s28
	s_mov_b32 s29, -1
	s_cbranch_scc0 .LBB2_23
.LBB2_17:                               ;   in Loop: Header=BB2_6 Depth=2
	s_lshl_b64 s[2:3], s[22:23], 3
	s_delay_alu instid0(SALU_CYCLE_1)
	s_add_u32 s26, s48, s2
	s_addc_u32 s27, s49, s3
	s_cmp_lt_i32 s28, s22
	global_load_b64 v[6:7], v2, s[26:27]
	s_cselect_b32 s34, -1, 0
	s_cmp_ge_i32 s28, s22
	s_waitcnt vmcnt(0)
	v_dual_mov_b32 v4, v6 :: v_dual_and_b32 v5, 0x7fffffff, v7
	s_cbranch_scc1 .LBB2_20
; %bb.18:                               ;   in Loop: Header=BB2_6 Depth=2
	s_add_u32 s2, s60, s24
	s_addc_u32 s3, s61, s25
	s_add_u32 s30, s56, s24
	s_addc_u32 s31, s57, s25
	s_mov_b32 s35, s28
	.p2align	6
.LBB2_19:                               ;   Parent Loop BB2_4 Depth=1
                                        ;     Parent Loop BB2_6 Depth=2
                                        ; =>    This Inner Loop Header: Depth=3
	s_clause 0x1
	global_load_b64 v[8:9], v2, s[30:31]
	global_load_b64 v[10:11], v2, s[2:3]
	v_max_f64 v[3:4], v[4:5], v[4:5]
	s_add_i32 s35, s35, 1
	s_add_u32 s2, s2, 8
	s_addc_u32 s3, s3, 0
	s_add_u32 s30, s30, 8
	s_addc_u32 s31, s31, 0
	s_cmp_lt_i32 s35, s22
	s_waitcnt vmcnt(1)
	v_max_f64 v[8:9], |v[8:9]|, |v[8:9]|
	s_waitcnt vmcnt(0)
	v_max_f64 v[10:11], |v[10:11]|, |v[10:11]|
	s_delay_alu instid0(VALU_DEP_1) | instskip(NEXT) | instid1(VALU_DEP_1)
	v_max_f64 v[8:9], v[10:11], v[8:9]
	v_max_f64 v[4:5], v[3:4], v[8:9]
	s_cbranch_scc1 .LBB2_19
.LBB2_20:                               ;   in Loop: Header=BB2_6 Depth=2
	s_delay_alu instid0(VALU_DEP_1) | instskip(SKIP_1) | instid1(VALU_DEP_1)
	v_cmp_eq_f64_e64 s3, 0, v[4:5]
	s_mov_b32 s2, -1
	s_and_b32 vcc_lo, exec_lo, s3
	s_mov_b32 s68, s28
	s_cbranch_vccz .LBB2_5
	s_branch .LBB2_24
.LBB2_21:                               ;   in Loop: Header=BB2_6 Depth=2
	v_mov_b32_e32 v3, v2
	global_store_b64 v2, v[2:3], s[30:31]
	s_cbranch_execnz .LBB2_16
.LBB2_22:                               ;   in Loop: Header=BB2_6 Depth=2
	s_max_i32 s22, s28, s51
	s_delay_alu instid0(SALU_CYCLE_1)
	s_add_i32 s66, s22, 1
	s_cmp_lg_u32 s22, s28
	s_mov_b32 s29, -1
	s_cbranch_scc1 .LBB2_17
.LBB2_23:                               ;   in Loop: Header=BB2_6 Depth=2
                                        ; implicit-def: $sgpr2
                                        ; implicit-def: $sgpr26_sgpr27
                                        ; implicit-def: $vgpr6_vgpr7
                                        ; implicit-def: $sgpr34
                                        ; implicit-def: $vgpr4_vgpr5
	s_mov_b32 s68, s28
	s_cbranch_execz .LBB2_5
.LBB2_24:                               ;   in Loop: Header=BB2_6 Depth=2
	s_cmp_ge_i32 s66, s33
	s_mov_b32 s2, 0
	s_cselect_b32 s29, -1, 0
	s_mov_b32 s68, s28
	s_branch .LBB2_5
.LBB2_25:                               ;   in Loop: Header=BB2_4 Depth=1
	s_and_b32 vcc_lo, exec_lo, s2
	s_mov_b32 s2, -1
                                        ; implicit-def: $sgpr37
	s_cbranch_vccz .LBB2_3
; %bb.26:                               ;   in Loop: Header=BB2_4 Depth=1
	v_cmp_nlt_f64_e32 vcc_lo, s[14:15], v[4:5]
	s_cbranch_vccz .LBB2_32
; %bb.27:                               ;   in Loop: Header=BB2_4 Depth=1
	v_cmp_gt_f64_e32 vcc_lo, s[18:19], v[4:5]
	s_cbranch_vccz .LBB2_33
; %bb.28:                               ;   in Loop: Header=BB2_4 Depth=1
	v_div_scale_f64 v[8:9], null, s[18:19], s[18:19], v[4:5]
	v_div_scale_f64 v[14:15], vcc_lo, v[4:5], s[18:19], v[4:5]
	s_mov_b32 s2, 0
	s_delay_alu instid0(VALU_DEP_2) | instskip(SKIP_2) | instid1(VALU_DEP_1)
	v_rcp_f64_e32 v[10:11], v[8:9]
	s_waitcnt_depctr 0xfff
	v_fma_f64 v[12:13], -v[8:9], v[10:11], 1.0
	v_fma_f64 v[10:11], v[10:11], v[12:13], v[10:11]
	s_delay_alu instid0(VALU_DEP_1) | instskip(NEXT) | instid1(VALU_DEP_1)
	v_fma_f64 v[12:13], -v[8:9], v[10:11], 1.0
	v_fma_f64 v[10:11], v[10:11], v[12:13], v[10:11]
	s_delay_alu instid0(VALU_DEP_1) | instskip(NEXT) | instid1(VALU_DEP_1)
	v_mul_f64 v[12:13], v[14:15], v[10:11]
	v_fma_f64 v[8:9], -v[8:9], v[12:13], v[14:15]
	s_delay_alu instid0(VALU_DEP_1) | instskip(SKIP_1) | instid1(VALU_DEP_1)
	v_div_fmas_f64 v[8:9], v[8:9], v[10:11], v[12:13]
	s_and_b32 vcc_lo, exec_lo, s34
	v_div_fixup_f64 v[8:9], v[8:9], s[18:19], v[4:5]
	s_waitcnt vmcnt(0)
	s_delay_alu instid0(VALU_DEP_1)
	v_mul_f64 v[10:11], v[6:7], v[8:9]
	global_store_b64 v2, v[10:11], s[26:27]
	s_cbranch_vccz .LBB2_33
; %bb.29:                               ;   in Loop: Header=BB2_4 Depth=1
	s_add_u32 s2, s60, s24
	s_addc_u32 s3, s61, s25
	s_add_u32 s28, s56, s24
	s_addc_u32 s29, s57, s25
	s_mov_b32 s30, s68
	.p2align	6
.LBB2_30:                               ;   Parent Loop BB2_4 Depth=1
                                        ; =>  This Inner Loop Header: Depth=2
	global_load_b64 v[10:11], v2, s[2:3]
	s_add_i32 s30, s30, 1
	s_waitcnt vmcnt(0)
	v_mul_f64 v[10:11], v[8:9], v[10:11]
	global_store_b64 v2, v[10:11], s[2:3]
	global_load_b64 v[10:11], v2, s[28:29]
	s_add_u32 s2, s2, 8
	s_addc_u32 s3, s3, 0
	s_waitcnt vmcnt(0)
	v_mul_f64 v[10:11], v[8:9], v[10:11]
	global_store_b64 v2, v[10:11], s[28:29]
	s_add_u32 s28, s28, 8
	s_addc_u32 s29, s29, 0
	s_cmp_lt_i32 s30, s22
	s_cbranch_scc1 .LBB2_30
; %bb.31:                               ;   in Loop: Header=BB2_4 Depth=1
	s_mov_b32 s2, -1
	s_branch .LBB2_38
.LBB2_32:                               ;   in Loop: Header=BB2_4 Depth=1
	s_mov_b32 s2, 0
	s_cbranch_execnz .LBB2_34
	s_branch .LBB2_38
.LBB2_33:                               ;   in Loop: Header=BB2_4 Depth=1
	s_branch .LBB2_38
.LBB2_34:                               ;   in Loop: Header=BB2_4 Depth=1
	v_div_scale_f64 v[8:9], null, s[14:15], s[14:15], v[4:5]
	v_div_scale_f64 v[14:15], vcc_lo, v[4:5], s[14:15], v[4:5]
	s_delay_alu instid0(VALU_DEP_2) | instskip(SKIP_2) | instid1(VALU_DEP_1)
	v_rcp_f64_e32 v[10:11], v[8:9]
	s_waitcnt_depctr 0xfff
	v_fma_f64 v[12:13], -v[8:9], v[10:11], 1.0
	v_fma_f64 v[10:11], v[10:11], v[12:13], v[10:11]
	s_delay_alu instid0(VALU_DEP_1) | instskip(NEXT) | instid1(VALU_DEP_1)
	v_fma_f64 v[12:13], -v[8:9], v[10:11], 1.0
	v_fma_f64 v[10:11], v[10:11], v[12:13], v[10:11]
	s_delay_alu instid0(VALU_DEP_1) | instskip(NEXT) | instid1(VALU_DEP_1)
	v_mul_f64 v[12:13], v[14:15], v[10:11]
	v_fma_f64 v[8:9], -v[8:9], v[12:13], v[14:15]
	s_delay_alu instid0(VALU_DEP_1) | instskip(SKIP_1) | instid1(VALU_DEP_1)
	v_div_fmas_f64 v[8:9], v[8:9], v[10:11], v[12:13]
	s_and_b32 vcc_lo, exec_lo, s34
	v_div_fixup_f64 v[8:9], v[8:9], s[14:15], v[4:5]
	s_waitcnt vmcnt(0)
	s_delay_alu instid0(VALU_DEP_1)
	v_mul_f64 v[6:7], v[6:7], v[8:9]
	global_store_b64 v2, v[6:7], s[26:27]
	s_cbranch_vccz .LBB2_38
; %bb.35:                               ;   in Loop: Header=BB2_4 Depth=1
	s_add_u32 s2, s60, s24
	s_addc_u32 s3, s61, s25
	s_add_u32 s28, s56, s24
	s_addc_u32 s29, s57, s25
	s_mov_b32 s30, s68
	.p2align	6
.LBB2_36:                               ;   Parent Loop BB2_4 Depth=1
                                        ; =>  This Inner Loop Header: Depth=2
	global_load_b64 v[6:7], v2, s[2:3]
	s_add_i32 s30, s30, 1
	s_waitcnt vmcnt(0)
	v_mul_f64 v[6:7], v[8:9], v[6:7]
	global_store_b64 v2, v[6:7], s[2:3]
	global_load_b64 v[6:7], v2, s[28:29]
	s_add_u32 s2, s2, 8
	s_addc_u32 s3, s3, 0
	s_waitcnt vmcnt(0)
	v_mul_f64 v[6:7], v[8:9], v[6:7]
	global_store_b64 v2, v[6:7], s[28:29]
	s_add_u32 s28, s28, 8
	s_addc_u32 s29, s29, 0
	s_cmp_ge_i32 s30, s22
	s_cbranch_scc0 .LBB2_36
; %bb.37:                               ;   in Loop: Header=BB2_4 Depth=1
	s_mov_b32 s2, -1
.LBB2_38:                               ;   in Loop: Header=BB2_4 Depth=1
	v_cndmask_b32_e64 v3, 0, 1, s34
	s_and_b32 vcc_lo, exec_lo, s2
	s_delay_alu instid0(VALU_DEP_1)
	v_cmp_ne_u32_e64 s2, 1, v3
	s_cbranch_vccz .LBB2_42
; %bb.39:                               ;   in Loop: Header=BB2_4 Depth=1
	s_delay_alu instid0(VALU_DEP_1)
	s_and_b32 vcc_lo, exec_lo, s2
	s_cbranch_vccnz .LBB2_42
; %bb.40:                               ;   in Loop: Header=BB2_4 Depth=1
	s_add_u32 s28, s56, s24
	s_addc_u32 s29, s57, s25
	s_mov_b32 s3, s68
.LBB2_41:                               ;   Parent Loop BB2_4 Depth=1
                                        ; =>  This Inner Loop Header: Depth=2
	global_load_b64 v[6:7], v2, s[28:29]
	s_add_i32 s3, s3, 1
	s_waitcnt vmcnt(0)
	v_mul_f64 v[6:7], v[6:7], v[6:7]
	global_store_b64 v2, v[6:7], s[28:29]
	s_add_u32 s28, s28, 8
	s_addc_u32 s29, s29, 0
	s_cmp_lt_i32 s3, s22
	s_cbranch_scc1 .LBB2_41
.LBB2_42:                               ;   in Loop: Header=BB2_4 Depth=1
	s_lshl_b64 s[4:5], s[4:5], 3
                                        ; implicit-def: $sgpr37
	s_delay_alu instid0(SALU_CYCLE_1)
	s_add_u32 s4, s48, s4
	s_addc_u32 s5, s49, s5
	s_clause 0x1
	global_load_b64 v[6:7], v2, s[26:27]
	global_load_b64 v[8:9], v2, s[4:5]
	s_mov_b32 s4, -1
	s_waitcnt vmcnt(0)
	v_cmp_lt_f64_e64 s3, |v[6:7]|, |v[8:9]|
	s_delay_alu instid0(VALU_DEP_1)
	s_and_b32 s3, s3, exec_lo
	s_cselect_b32 s69, s68, s22
	s_cselect_b32 s28, s22, s68
	s_cmp_lt_i32 s67, s50
	s_cselect_b32 s3, -1, 0
	s_cmp_lt_i32 s69, s28
	v_cndmask_b32_e64 v3, 0, 1, s3
	s_delay_alu instid0(VALU_DEP_1)
	v_cmp_ne_u32_e64 s3, 1, v3
	s_cbranch_scc0 .LBB2_45
; %bb.43:                               ;   in Loop: Header=BB2_4 Depth=1
	s_and_not1_b32 vcc_lo, exec_lo, s4
	s_cbranch_vccz .LBB2_47
.LBB2_44:                               ;   in Loop: Header=BB2_4 Depth=1
	v_cmp_lt_f64_e32 vcc_lo, s[14:15], v[4:5]
	s_and_not1_b32 vcc_lo, exec_lo, vcc_lo
	s_cbranch_vccz .LBB2_145
	s_branch .LBB2_148
.LBB2_45:                               ;   in Loop: Header=BB2_4 Depth=1
	s_delay_alu instid0(VALU_DEP_1)
	s_and_b32 vcc_lo, exec_lo, s3
	s_mov_b32 s37, s67
	s_mov_b32 s30, s28
	;; [unrolled: 1-line block ×3, first 2 shown]
	s_cbranch_vccz .LBB2_49
.LBB2_46:                               ;   in Loop: Header=BB2_4 Depth=1
	s_cbranch_execnz .LBB2_44
.LBB2_47:                               ;   in Loop: Header=BB2_4 Depth=1
	s_delay_alu instid0(VALU_DEP_1)
	s_and_b32 vcc_lo, exec_lo, s3
	s_cbranch_vccz .LBB2_97
	s_branch .LBB2_144
.LBB2_48:                               ;   in Loop: Header=BB2_49 Depth=2
	s_and_not1_b32 vcc_lo, exec_lo, s31
	s_mov_b32 s30, s4
	s_cbranch_vccz .LBB2_46
.LBB2_49:                               ;   Parent Loop BB2_4 Depth=1
                                        ; =>  This Loop Header: Depth=2
                                        ;       Child Loop BB2_51 Depth 3
                                        ;       Child Loop BB2_63 Depth 3
	s_mov_b32 s31, s23
	s_max_i32 s36, s69, s30
	s_lshl_b64 s[38:39], s[30:31], 3
	s_mov_b32 s42, s30
	s_add_u32 s34, s58, s38
	s_addc_u32 s35, s59, s39
	s_add_u32 s4, s62, s38
	s_addc_u32 s5, s63, s39
	s_set_inst_prefetch_distance 0x1
	s_branch .LBB2_51
	.p2align	6
.LBB2_50:                               ;   in Loop: Header=BB2_51 Depth=3
	s_delay_alu instid0(VALU_DEP_1)
	s_and_not1_b32 vcc_lo, exec_lo, s43
	s_cbranch_vccz .LBB2_53
.LBB2_51:                               ;   Parent Loop BB2_4 Depth=1
                                        ;     Parent Loop BB2_49 Depth=2
                                        ; =>    This Inner Loop Header: Depth=3
	s_mov_b32 s31, s42
	s_mov_b32 s37, -1
	s_cmp_ge_i32 s42, s69
	s_mov_b32 s43, -1
                                        ; implicit-def: $sgpr42
                                        ; implicit-def: $sgpr40_sgpr41
	s_cbranch_scc1 .LBB2_50
; %bb.52:                               ;   in Loop: Header=BB2_51 Depth=3
	s_clause 0x1
	global_load_b128 v[6:9], v2, s[4:5] offset:-8
	global_load_b64 v[10:11], v2, s[34:35] offset:8
	s_add_u32 s40, s34, 8
	s_addc_u32 s41, s35, 0
	s_add_i32 s42, s31, 1
	s_add_u32 s4, s4, 8
	s_addc_u32 s5, s5, 0
	s_mov_b32 s37, 0
	s_mov_b64 s[34:35], s[40:41]
	s_waitcnt vmcnt(1)
	v_mul_f64 v[6:7], v[6:7], v[8:9]
	s_delay_alu instid0(VALU_DEP_1) | instskip(SKIP_1) | instid1(VALU_DEP_1)
	v_mul_f64 v[6:7], v[0:1], |v[6:7]|
	s_waitcnt vmcnt(0)
	v_cmp_le_f64_e64 s43, |v[10:11]|, v[6:7]
	s_branch .LBB2_50
.LBB2_53:                               ;   in Loop: Header=BB2_49 Depth=2
	s_set_inst_prefetch_distance 0x2
	s_and_not1_b32 vcc_lo, exec_lo, s37
	s_cbranch_vccz .LBB2_55
; %bb.54:                               ;   in Loop: Header=BB2_49 Depth=2
	v_mov_b32_e32 v3, v2
	s_mov_b32 s36, s31
	global_store_b64 v2, v[2:3], s[40:41]
.LBB2_55:                               ;   in Loop: Header=BB2_49 Depth=2
	s_add_i32 s4, s30, 1
	s_cmp_eq_u32 s36, s30
	s_mov_b32 s31, -1
	s_cbranch_scc1 .LBB2_71
; %bb.56:                               ;   in Loop: Header=BB2_49 Depth=2
	s_add_u32 s34, s48, s38
	s_addc_u32 s35, s49, s39
	s_cmp_lg_u32 s36, s4
	global_load_b64 v[6:7], v2, s[34:35]
	s_cbranch_scc0 .LBB2_72
; %bb.57:                               ;   in Loop: Header=BB2_49 Depth=2
	s_mov_b32 s70, 0
	s_cmp_lg_u32 s29, s50
	s_mov_b32 s5, 0
                                        ; implicit-def: $sgpr42
	s_cbranch_scc0 .LBB2_76
; %bb.58:                               ;   in Loop: Header=BB2_49 Depth=2
	s_add_u32 s40, s10, s38
	s_addc_u32 s41, s11, s39
	s_mov_b32 s37, s23
	s_clause 0x1
	global_load_b64 v[8:9], v2, s[40:41]
	global_load_b64 v[10:11], v2, s[34:35] offset:8
	s_waitcnt vmcnt(1)
	v_cmp_gt_f64_e32 vcc_lo, 0x10000000, v[8:9]
	s_waitcnt vmcnt(0)
	v_add_f64 v[10:11], v[10:11], -v[6:7]
	v_cndmask_b32_e64 v3, 0, 1, vcc_lo
	s_and_b32 s4, vcc_lo, exec_lo
	s_cselect_b32 s4, 0xffffff80, 0
	s_delay_alu instid0(VALU_DEP_1) | instskip(NEXT) | instid1(VALU_DEP_1)
	v_lshlrev_b32_e32 v3, 8, v3
	v_ldexp_f64 v[8:9], v[8:9], v3
	s_delay_alu instid0(VALU_DEP_1) | instskip(SKIP_4) | instid1(VALU_DEP_1)
	v_rsq_f64_e32 v[12:13], v[8:9]
	v_cmp_class_f64_e64 vcc_lo, v[8:9], 0x260
	s_waitcnt_depctr 0xfff
	v_mul_f64 v[14:15], v[8:9], v[12:13]
	v_mul_f64 v[12:13], v[12:13], 0.5
	v_fma_f64 v[16:17], -v[12:13], v[14:15], 0.5
	s_delay_alu instid0(VALU_DEP_1) | instskip(SKIP_1) | instid1(VALU_DEP_2)
	v_fma_f64 v[14:15], v[14:15], v[16:17], v[14:15]
	v_fma_f64 v[12:13], v[12:13], v[16:17], v[12:13]
	v_fma_f64 v[16:17], -v[14:15], v[14:15], v[8:9]
	s_delay_alu instid0(VALU_DEP_1) | instskip(NEXT) | instid1(VALU_DEP_1)
	v_fma_f64 v[14:15], v[16:17], v[12:13], v[14:15]
	v_fma_f64 v[16:17], -v[14:15], v[14:15], v[8:9]
	s_delay_alu instid0(VALU_DEP_1) | instskip(NEXT) | instid1(VALU_DEP_1)
	v_fma_f64 v[12:13], v[16:17], v[12:13], v[14:15]
	v_ldexp_f64 v[12:13], v[12:13], s4
	s_delay_alu instid0(VALU_DEP_1) | instskip(NEXT) | instid1(VALU_DEP_1)
	v_dual_cndmask_b32 v8, v12, v8 :: v_dual_cndmask_b32 v9, v13, v9
	v_add_f64 v[12:13], v[8:9], v[8:9]
	s_delay_alu instid0(VALU_DEP_1) | instskip(SKIP_1) | instid1(VALU_DEP_2)
	v_div_scale_f64 v[14:15], null, v[12:13], v[12:13], v[10:11]
	v_div_scale_f64 v[20:21], vcc_lo, v[10:11], v[12:13], v[10:11]
	v_rcp_f64_e32 v[16:17], v[14:15]
	s_waitcnt_depctr 0xfff
	v_fma_f64 v[18:19], -v[14:15], v[16:17], 1.0
	s_delay_alu instid0(VALU_DEP_1) | instskip(NEXT) | instid1(VALU_DEP_1)
	v_fma_f64 v[16:17], v[16:17], v[18:19], v[16:17]
	v_fma_f64 v[18:19], -v[14:15], v[16:17], 1.0
	s_delay_alu instid0(VALU_DEP_1) | instskip(NEXT) | instid1(VALU_DEP_1)
	v_fma_f64 v[16:17], v[16:17], v[18:19], v[16:17]
	v_mul_f64 v[18:19], v[20:21], v[16:17]
	s_delay_alu instid0(VALU_DEP_1) | instskip(NEXT) | instid1(VALU_DEP_1)
	v_fma_f64 v[14:15], -v[14:15], v[18:19], v[20:21]
	v_div_fmas_f64 v[14:15], v[14:15], v[16:17], v[18:19]
	s_delay_alu instid0(VALU_DEP_1) | instskip(NEXT) | instid1(VALU_DEP_1)
	v_div_fixup_f64 v[10:11], v[14:15], v[12:13], v[10:11]
	v_fma_f64 v[12:13], v[10:11], v[10:11], 1.0
	s_delay_alu instid0(VALU_DEP_1) | instskip(SKIP_3) | instid1(VALU_DEP_1)
	v_cmp_gt_f64_e32 vcc_lo, 0x10000000, v[12:13]
	v_cndmask_b32_e64 v3, 0, 1, vcc_lo
	s_and_b32 s4, vcc_lo, exec_lo
	s_cselect_b32 s4, 0xffffff80, 0
	v_lshlrev_b32_e32 v3, 8, v3
	s_delay_alu instid0(VALU_DEP_1) | instskip(NEXT) | instid1(VALU_DEP_1)
	v_ldexp_f64 v[12:13], v[12:13], v3
	v_rsq_f64_e32 v[14:15], v[12:13]
	v_cmp_class_f64_e64 vcc_lo, v[12:13], 0x260
	s_waitcnt_depctr 0xfff
	v_mul_f64 v[16:17], v[12:13], v[14:15]
	v_mul_f64 v[14:15], v[14:15], 0.5
	s_delay_alu instid0(VALU_DEP_1) | instskip(NEXT) | instid1(VALU_DEP_1)
	v_fma_f64 v[18:19], -v[14:15], v[16:17], 0.5
	v_fma_f64 v[16:17], v[16:17], v[18:19], v[16:17]
	v_fma_f64 v[14:15], v[14:15], v[18:19], v[14:15]
	s_delay_alu instid0(VALU_DEP_2) | instskip(NEXT) | instid1(VALU_DEP_1)
	v_fma_f64 v[18:19], -v[16:17], v[16:17], v[12:13]
	v_fma_f64 v[16:17], v[18:19], v[14:15], v[16:17]
	s_delay_alu instid0(VALU_DEP_1) | instskip(NEXT) | instid1(VALU_DEP_1)
	v_fma_f64 v[18:19], -v[16:17], v[16:17], v[12:13]
	v_fma_f64 v[14:15], v[18:19], v[14:15], v[16:17]
	s_delay_alu instid0(VALU_DEP_1) | instskip(SKIP_1) | instid1(SALU_CYCLE_1)
	v_ldexp_f64 v[14:15], v[14:15], s4
	s_lshl_b64 s[4:5], s[36:37], 3
	s_add_u32 s4, s48, s4
	s_addc_u32 s5, s49, s5
	s_cmp_le_i32 s36, s30
	global_load_b64 v[18:19], v2, s[4:5]
	v_dual_cndmask_b32 v3, v15, v13 :: v_dual_cndmask_b32 v12, v14, v12
	v_cmp_nle_f64_e32 vcc_lo, 0, v[10:11]
	s_delay_alu instid0(VALU_DEP_2) | instskip(SKIP_1) | instid1(VALU_DEP_1)
	v_and_b32_e32 v13, 0x7fffffff, v3
	v_or_b32_e32 v3, 0x80000000, v3
	v_cndmask_b32_e32 v13, v13, v3, vcc_lo
	s_delay_alu instid0(VALU_DEP_1) | instskip(NEXT) | instid1(VALU_DEP_1)
	v_add_f64 v[10:11], v[10:11], v[12:13]
	v_div_scale_f64 v[12:13], null, v[10:11], v[10:11], v[8:9]
	s_delay_alu instid0(VALU_DEP_1) | instskip(SKIP_2) | instid1(VALU_DEP_1)
	v_rcp_f64_e32 v[14:15], v[12:13]
	s_waitcnt_depctr 0xfff
	v_fma_f64 v[16:17], -v[12:13], v[14:15], 1.0
	v_fma_f64 v[14:15], v[14:15], v[16:17], v[14:15]
	s_delay_alu instid0(VALU_DEP_1) | instskip(NEXT) | instid1(VALU_DEP_1)
	v_fma_f64 v[16:17], -v[12:13], v[14:15], 1.0
	v_fma_f64 v[14:15], v[14:15], v[16:17], v[14:15]
	v_div_scale_f64 v[16:17], vcc_lo, v[8:9], v[10:11], v[8:9]
	s_delay_alu instid0(VALU_DEP_1) | instskip(NEXT) | instid1(VALU_DEP_1)
	v_mul_f64 v[20:21], v[16:17], v[14:15]
	v_fma_f64 v[12:13], -v[12:13], v[20:21], v[16:17]
	s_delay_alu instid0(VALU_DEP_1) | instskip(NEXT) | instid1(VALU_DEP_1)
	v_div_fmas_f64 v[12:13], v[12:13], v[14:15], v[20:21]
	v_div_fixup_f64 v[8:9], v[12:13], v[10:11], v[8:9]
	v_mov_b32_e32 v12, 0
	v_mov_b32_e32 v13, 0
	s_delay_alu instid0(VALU_DEP_3) | instskip(SKIP_1) | instid1(VALU_DEP_1)
	v_add_f64 v[8:9], v[6:7], -v[8:9]
	s_waitcnt vmcnt(0)
	v_add_f64 v[14:15], v[18:19], -v[8:9]
	s_delay_alu instid0(VALU_DEP_1)
	v_mul_f64 v[16:17], v[14:15], v[14:15]
	s_cbranch_scc1 .LBB2_75
; %bb.59:                               ;   in Loop: Header=BB2_49 Depth=2
	s_ashr_i32 s37, s36, 31
	s_delay_alu instid0(SALU_CYCLE_1) | instskip(NEXT) | instid1(SALU_CYCLE_1)
	s_lshl_b64 s[42:43], s[36:37], 3
	s_add_u32 s4, s52, s42
	s_addc_u32 s5, s53, s43
	global_load_b64 v[10:11], v2, s[4:5]
	s_add_u32 s4, s54, s42
	s_addc_u32 s5, s55, s43
	global_load_b64 v[20:21], v2, s[4:5]
	s_waitcnt vmcnt(1)
	v_add_f64 v[18:19], v[16:17], v[10:11]
	s_delay_alu instid0(VALU_DEP_1) | instskip(SKIP_2) | instid1(VALU_DEP_3)
	v_div_scale_f64 v[12:13], null, v[18:19], v[18:19], v[16:17]
	v_div_scale_f64 v[22:23], null, v[18:19], v[18:19], v[10:11]
	v_div_scale_f64 v[32:33], vcc_lo, v[16:17], v[18:19], v[16:17]
	v_rcp_f64_e32 v[24:25], v[12:13]
	s_delay_alu instid0(VALU_DEP_2) | instskip(SKIP_3) | instid1(VALU_DEP_2)
	v_rcp_f64_e32 v[26:27], v[22:23]
	s_waitcnt_depctr 0xfff
	v_fma_f64 v[28:29], -v[12:13], v[24:25], 1.0
	v_fma_f64 v[30:31], -v[22:23], v[26:27], 1.0
	v_fma_f64 v[24:25], v[24:25], v[28:29], v[24:25]
	s_delay_alu instid0(VALU_DEP_2) | instskip(NEXT) | instid1(VALU_DEP_2)
	v_fma_f64 v[26:27], v[26:27], v[30:31], v[26:27]
	v_fma_f64 v[28:29], -v[12:13], v[24:25], 1.0
	s_delay_alu instid0(VALU_DEP_2) | instskip(NEXT) | instid1(VALU_DEP_2)
	v_fma_f64 v[30:31], -v[22:23], v[26:27], 1.0
	v_fma_f64 v[24:25], v[24:25], v[28:29], v[24:25]
	v_div_scale_f64 v[28:29], s4, v[10:11], v[18:19], v[10:11]
	s_delay_alu instid0(VALU_DEP_3) | instskip(NEXT) | instid1(VALU_DEP_3)
	v_fma_f64 v[26:27], v[26:27], v[30:31], v[26:27]
	v_mul_f64 v[30:31], v[32:33], v[24:25]
	s_delay_alu instid0(VALU_DEP_2) | instskip(NEXT) | instid1(VALU_DEP_2)
	v_mul_f64 v[34:35], v[28:29], v[26:27]
	v_fma_f64 v[12:13], -v[12:13], v[30:31], v[32:33]
	s_delay_alu instid0(VALU_DEP_2) | instskip(NEXT) | instid1(VALU_DEP_2)
	v_fma_f64 v[22:23], -v[22:23], v[34:35], v[28:29]
	v_div_fmas_f64 v[24:25], v[12:13], v[24:25], v[30:31]
	s_mov_b32 vcc_lo, s4
	s_add_u32 s4, s48, s42
	s_delay_alu instid0(VALU_DEP_2) | instskip(SKIP_3) | instid1(VALU_DEP_3)
	v_div_fmas_f64 v[12:13], v[22:23], v[26:27], v[34:35]
	s_waitcnt vmcnt(0)
	v_add_f64 v[22:23], v[20:21], -v[8:9]
	s_addc_u32 s5, s49, s43
	v_div_fixup_f64 v[16:17], v[24:25], v[18:19], v[16:17]
	s_delay_alu instid0(VALU_DEP_3) | instskip(NEXT) | instid1(VALU_DEP_2)
	v_div_fixup_f64 v[12:13], v[12:13], v[18:19], v[10:11]
	v_cmp_eq_f64_e32 vcc_lo, 0, v[16:17]
	s_delay_alu instid0(VALU_DEP_2) | instskip(SKIP_1) | instid1(VALU_DEP_1)
	v_mul_f64 v[18:19], v[14:15], v[12:13]
	s_and_b32 vcc_lo, exec_lo, vcc_lo
	v_fma_f64 v[18:19], v[16:17], v[22:23], -v[18:19]
	s_delay_alu instid0(VALU_DEP_1) | instskip(NEXT) | instid1(VALU_DEP_1)
	v_add_f64 v[20:21], v[20:21], -v[18:19]
	v_add_f64 v[14:15], v[14:15], v[20:21]
	global_store_b64 v2, v[14:15], s[4:5]
	s_cbranch_vccnz .LBB2_61
; %bb.60:                               ;   in Loop: Header=BB2_49 Depth=2
	v_mul_f64 v[10:11], v[18:19], v[18:19]
	s_delay_alu instid0(VALU_DEP_1) | instskip(NEXT) | instid1(VALU_DEP_1)
	v_div_scale_f64 v[14:15], null, v[16:17], v[16:17], v[10:11]
	v_rcp_f64_e32 v[20:21], v[14:15]
	s_waitcnt_depctr 0xfff
	v_fma_f64 v[22:23], -v[14:15], v[20:21], 1.0
	s_delay_alu instid0(VALU_DEP_1) | instskip(NEXT) | instid1(VALU_DEP_1)
	v_fma_f64 v[20:21], v[20:21], v[22:23], v[20:21]
	v_fma_f64 v[22:23], -v[14:15], v[20:21], 1.0
	s_delay_alu instid0(VALU_DEP_1) | instskip(SKIP_1) | instid1(VALU_DEP_1)
	v_fma_f64 v[20:21], v[20:21], v[22:23], v[20:21]
	v_div_scale_f64 v[22:23], vcc_lo, v[10:11], v[16:17], v[10:11]
	v_mul_f64 v[24:25], v[22:23], v[20:21]
	s_delay_alu instid0(VALU_DEP_1) | instskip(NEXT) | instid1(VALU_DEP_1)
	v_fma_f64 v[14:15], -v[14:15], v[24:25], v[22:23]
	v_div_fmas_f64 v[14:15], v[14:15], v[20:21], v[24:25]
	s_delay_alu instid0(VALU_DEP_1)
	v_div_fixup_f64 v[10:11], v[14:15], v[16:17], v[10:11]
.LBB2_61:                               ;   in Loop: Header=BB2_49 Depth=2
	s_add_i32 s4, s36, -1
	s_delay_alu instid0(SALU_CYCLE_1)
	s_cmp_le_i32 s4, s30
	s_cbranch_scc1 .LBB2_73
; %bb.62:                               ;   in Loop: Header=BB2_49 Depth=2
	s_add_i32 s4, s36, -2
	s_mov_b32 s37, -1
	s_ashr_i32 s5, s4, 31
	s_delay_alu instid0(SALU_CYCLE_1) | instskip(NEXT) | instid1(SALU_CYCLE_1)
	s_lshl_b64 s[4:5], s[4:5], 3
	s_add_u32 s44, s62, s4
	s_addc_u32 s45, s63, s5
	s_add_u32 s46, s64, s4
	s_addc_u32 s47, s65, s5
.LBB2_63:                               ;   Parent Loop BB2_4 Depth=1
                                        ;     Parent Loop BB2_49 Depth=2
                                        ; =>    This Inner Loop Header: Depth=3
	global_load_b64 v[20:21], v2, s[46:47] offset:-8
	s_add_u32 s42, s46, -8
	s_addc_u32 s43, s47, -1
	s_cmp_eq_u32 s37, 0
	s_waitcnt vmcnt(0)
	v_add_f64 v[14:15], v[10:11], v[20:21]
	s_cbranch_scc1 .LBB2_65
; %bb.64:                               ;   in Loop: Header=BB2_63 Depth=3
	s_delay_alu instid0(VALU_DEP_1)
	v_mul_f64 v[12:13], v[12:13], v[14:15]
	global_store_b64 v2, v[12:13], s[46:47]
.LBB2_65:                               ;   in Loop: Header=BB2_63 Depth=3
	s_delay_alu instid0(VALU_DEP_1)
	v_div_scale_f64 v[12:13], null, v[14:15], v[14:15], v[10:11]
	v_div_scale_f64 v[22:23], null, v[14:15], v[14:15], v[20:21]
	global_load_b64 v[28:29], v2, s[44:45] offset:-8
	v_div_scale_f64 v[34:35], vcc_lo, v[10:11], v[14:15], v[10:11]
	v_rcp_f64_e32 v[24:25], v[12:13]
	v_rcp_f64_e32 v[26:27], v[22:23]
	s_waitcnt_depctr 0xfff
	v_fma_f64 v[30:31], -v[12:13], v[24:25], 1.0
	v_fma_f64 v[32:33], -v[22:23], v[26:27], 1.0
	s_delay_alu instid0(VALU_DEP_2) | instskip(NEXT) | instid1(VALU_DEP_2)
	v_fma_f64 v[24:25], v[24:25], v[30:31], v[24:25]
	v_fma_f64 v[26:27], v[26:27], v[32:33], v[26:27]
	s_delay_alu instid0(VALU_DEP_2) | instskip(NEXT) | instid1(VALU_DEP_2)
	v_fma_f64 v[30:31], -v[12:13], v[24:25], 1.0
	v_fma_f64 v[32:33], -v[22:23], v[26:27], 1.0
	s_delay_alu instid0(VALU_DEP_2) | instskip(SKIP_1) | instid1(VALU_DEP_3)
	v_fma_f64 v[24:25], v[24:25], v[30:31], v[24:25]
	v_div_scale_f64 v[30:31], s4, v[20:21], v[14:15], v[20:21]
	v_fma_f64 v[26:27], v[26:27], v[32:33], v[26:27]
	s_delay_alu instid0(VALU_DEP_3) | instskip(NEXT) | instid1(VALU_DEP_2)
	v_mul_f64 v[32:33], v[34:35], v[24:25]
	v_mul_f64 v[36:37], v[30:31], v[26:27]
	s_delay_alu instid0(VALU_DEP_2) | instskip(NEXT) | instid1(VALU_DEP_2)
	v_fma_f64 v[12:13], -v[12:13], v[32:33], v[34:35]
	v_fma_f64 v[22:23], -v[22:23], v[36:37], v[30:31]
	s_delay_alu instid0(VALU_DEP_2) | instskip(SKIP_2) | instid1(VALU_DEP_2)
	v_div_fmas_f64 v[24:25], v[12:13], v[24:25], v[32:33]
	s_mov_b32 vcc_lo, s4
	s_add_u32 s4, s44, -8
	v_div_fmas_f64 v[12:13], v[22:23], v[26:27], v[36:37]
	s_addc_u32 s5, s45, -1
	s_waitcnt vmcnt(0)
	v_add_f64 v[26:27], v[28:29], -v[8:9]
	s_delay_alu instid0(VALU_DEP_3) | instskip(NEXT) | instid1(VALU_DEP_3)
	v_div_fixup_f64 v[22:23], v[24:25], v[14:15], v[10:11]
	v_div_fixup_f64 v[12:13], v[12:13], v[14:15], v[20:21]
	s_delay_alu instid0(VALU_DEP_2) | instskip(NEXT) | instid1(VALU_DEP_2)
	v_cmp_eq_f64_e32 vcc_lo, 0, v[22:23]
	v_mul_f64 v[10:11], v[18:19], v[12:13]
	s_and_b32 vcc_lo, exec_lo, vcc_lo
	s_delay_alu instid0(VALU_DEP_1) | instskip(NEXT) | instid1(VALU_DEP_1)
	v_fma_f64 v[14:15], v[22:23], v[26:27], -v[10:11]
	v_add_f64 v[10:11], v[28:29], -v[14:15]
	s_delay_alu instid0(VALU_DEP_1)
	v_add_f64 v[10:11], v[18:19], v[10:11]
	global_store_b64 v2, v[10:11], s[44:45]
	s_cbranch_vccz .LBB2_70
; %bb.66:                               ;   in Loop: Header=BB2_63 Depth=3
	v_mul_f64 v[10:11], v[16:17], v[20:21]
	s_cbranch_execnz .LBB2_68
.LBB2_67:                               ;   in Loop: Header=BB2_63 Depth=3
	v_mul_f64 v[10:11], v[14:15], v[14:15]
	s_delay_alu instid0(VALU_DEP_1) | instskip(NEXT) | instid1(VALU_DEP_1)
	v_div_scale_f64 v[16:17], null, v[22:23], v[22:23], v[10:11]
	v_rcp_f64_e32 v[18:19], v[16:17]
	s_waitcnt_depctr 0xfff
	v_fma_f64 v[20:21], -v[16:17], v[18:19], 1.0
	s_delay_alu instid0(VALU_DEP_1) | instskip(NEXT) | instid1(VALU_DEP_1)
	v_fma_f64 v[18:19], v[18:19], v[20:21], v[18:19]
	v_fma_f64 v[20:21], -v[16:17], v[18:19], 1.0
	s_delay_alu instid0(VALU_DEP_1) | instskip(SKIP_1) | instid1(VALU_DEP_1)
	v_fma_f64 v[18:19], v[18:19], v[20:21], v[18:19]
	v_div_scale_f64 v[20:21], vcc_lo, v[10:11], v[22:23], v[10:11]
	v_mul_f64 v[24:25], v[20:21], v[18:19]
	s_delay_alu instid0(VALU_DEP_1) | instskip(NEXT) | instid1(VALU_DEP_1)
	v_fma_f64 v[16:17], -v[16:17], v[24:25], v[20:21]
	v_div_fmas_f64 v[16:17], v[16:17], v[18:19], v[24:25]
	s_delay_alu instid0(VALU_DEP_1)
	v_div_fixup_f64 v[10:11], v[16:17], v[22:23], v[10:11]
.LBB2_68:                               ;   in Loop: Header=BB2_63 Depth=3
	s_add_i32 s37, s37, -1
	s_delay_alu instid0(SALU_CYCLE_1) | instskip(NEXT) | instid1(SALU_CYCLE_1)
	s_add_i32 s44, s36, s37
	s_cmp_le_i32 s44, s30
	s_cbranch_scc1 .LBB2_74
; %bb.69:                               ;   in Loop: Header=BB2_63 Depth=3
	v_dual_mov_b32 v16, v22 :: v_dual_mov_b32 v17, v23
	v_dual_mov_b32 v19, v15 :: v_dual_mov_b32 v18, v14
	s_mov_b64 s[46:47], s[42:43]
	s_mov_b64 s[44:45], s[4:5]
	s_branch .LBB2_63
.LBB2_70:                               ;   in Loop: Header=BB2_63 Depth=3
                                        ; implicit-def: $vgpr10_vgpr11
	s_branch .LBB2_67
.LBB2_71:                               ;   in Loop: Header=BB2_49 Depth=2
                                        ; implicit-def: $sgpr37
	s_cbranch_execz .LBB2_48
	s_branch .LBB2_95
.LBB2_72:                               ;   in Loop: Header=BB2_49 Depth=2
	s_mov_b32 s5, 0
                                        ; implicit-def: $sgpr37
                                        ; implicit-def: $sgpr4
                                        ; implicit-def: $sgpr42
	s_cbranch_execnz .LBB2_77
	s_branch .LBB2_94
.LBB2_73:                               ;   in Loop: Header=BB2_49 Depth=2
	v_dual_mov_b32 v14, v18 :: v_dual_mov_b32 v15, v19
.LBB2_74:                               ;   in Loop: Header=BB2_49 Depth=2
	s_delay_alu instid0(VALU_DEP_1)
	v_dual_mov_b32 v17, v11 :: v_dual_mov_b32 v16, v10
.LBB2_75:                               ;   in Loop: Header=BB2_49 Depth=2
	s_delay_alu instid0(VALU_DEP_1) | instskip(NEXT) | instid1(VALU_DEP_3)
	v_mul_f64 v[10:11], v[12:13], v[16:17]
	v_add_f64 v[8:9], v[8:9], v[14:15]
	s_add_i32 s42, s29, 1
	s_mov_b32 s5, -1
	s_clause 0x1
	global_store_b64 v2, v[10:11], s[40:41]
	global_store_b64 v2, v[8:9], s[34:35]
.LBB2_76:                               ;   in Loop: Header=BB2_49 Depth=2
	s_mov_b32 s37, s50
	s_mov_b32 s4, s30
	s_and_b32 vcc_lo, exec_lo, s70
	s_cbranch_vccz .LBB2_94
.LBB2_77:                               ;   in Loop: Header=BB2_49 Depth=2
	s_add_u32 s38, s10, s38
	s_addc_u32 s39, s11, s39
	s_mov_b32 s37, s23
	global_load_b64 v[8:9], v2, s[38:39]
	s_waitcnt vmcnt(0)
	v_cmp_gt_f64_e32 vcc_lo, 0x10000000, v[8:9]
	v_cndmask_b32_e64 v3, 0, 1, vcc_lo
	s_and_b32 s4, vcc_lo, exec_lo
	s_cselect_b32 s40, 0xffffff80, 0
	s_lshl_b64 s[4:5], s[36:37], 3
	s_delay_alu instid0(SALU_CYCLE_1) | instskip(SKIP_4) | instid1(VALU_DEP_1)
	s_add_u32 s36, s48, s4
	v_lshlrev_b32_e32 v3, 8, v3
	s_addc_u32 s37, s49, s5
	global_load_b64 v[10:11], v2, s[36:37]
	v_ldexp_f64 v[8:9], v[8:9], v3
	v_rsq_f64_e32 v[12:13], v[8:9]
	v_cmp_class_f64_e64 vcc_lo, v[8:9], 0x260
	s_waitcnt_depctr 0xfff
	v_mul_f64 v[14:15], v[8:9], v[12:13]
	v_mul_f64 v[12:13], v[12:13], 0.5
	s_delay_alu instid0(VALU_DEP_1) | instskip(NEXT) | instid1(VALU_DEP_1)
	v_fma_f64 v[16:17], -v[12:13], v[14:15], 0.5
	v_fma_f64 v[14:15], v[14:15], v[16:17], v[14:15]
	v_fma_f64 v[12:13], v[12:13], v[16:17], v[12:13]
	s_delay_alu instid0(VALU_DEP_2) | instskip(NEXT) | instid1(VALU_DEP_1)
	v_fma_f64 v[16:17], -v[14:15], v[14:15], v[8:9]
	v_fma_f64 v[14:15], v[16:17], v[12:13], v[14:15]
	s_delay_alu instid0(VALU_DEP_1) | instskip(NEXT) | instid1(VALU_DEP_1)
	v_fma_f64 v[16:17], -v[14:15], v[14:15], v[8:9]
	v_fma_f64 v[12:13], v[16:17], v[12:13], v[14:15]
	s_waitcnt vmcnt(0)
	v_add_f64 v[14:15], v[6:7], -v[10:11]
	s_delay_alu instid0(VALU_DEP_2) | instskip(NEXT) | instid1(VALU_DEP_1)
	v_ldexp_f64 v[12:13], v[12:13], s40
	v_dual_cndmask_b32 v8, v12, v8 :: v_dual_cndmask_b32 v9, v13, v9
	s_delay_alu instid0(VALU_DEP_1) | instskip(NEXT) | instid1(VALU_DEP_1)
	v_add_f64 v[16:17], v[8:9], v[8:9]
	v_cmp_ngt_f64_e64 s4, |v[14:15]|, |v[16:17]|
	s_delay_alu instid0(VALU_DEP_1)
	s_and_b32 vcc_lo, exec_lo, s4
	s_cbranch_vccz .LBB2_80
; %bb.78:                               ;   in Loop: Header=BB2_49 Depth=2
	v_cmp_nlt_f64_e64 s4, |v[14:15]|, |v[16:17]|
	s_delay_alu instid0(VALU_DEP_1)
	s_and_b32 vcc_lo, exec_lo, s4
	s_cbranch_vccz .LBB2_81
; %bb.79:                               ;   in Loop: Header=BB2_49 Depth=2
	v_mul_f64 v[12:13], |v[16:17]|, s[12:13]
	s_cbranch_execz .LBB2_82
	s_branch .LBB2_83
.LBB2_80:                               ;   in Loop: Header=BB2_49 Depth=2
                                        ; implicit-def: $vgpr12_vgpr13
	s_branch .LBB2_84
.LBB2_81:                               ;   in Loop: Header=BB2_49 Depth=2
                                        ; implicit-def: $vgpr12_vgpr13
.LBB2_82:                               ;   in Loop: Header=BB2_49 Depth=2
	v_dual_mov_b32 v12, v14 :: v_dual_and_b32 v13, 0x7fffffff, v15
	v_dual_mov_b32 v18, v16 :: v_dual_and_b32 v19, 0x7fffffff, v17
	s_delay_alu instid0(VALU_DEP_1) | instskip(SKIP_1) | instid1(VALU_DEP_2)
	v_div_scale_f64 v[20:21], null, v[18:19], v[18:19], v[12:13]
	v_div_scale_f64 v[12:13], vcc_lo, v[12:13], v[18:19], v[12:13]
	v_rcp_f64_e32 v[22:23], v[20:21]
	s_waitcnt_depctr 0xfff
	v_fma_f64 v[24:25], -v[20:21], v[22:23], 1.0
	s_delay_alu instid0(VALU_DEP_1) | instskip(NEXT) | instid1(VALU_DEP_1)
	v_fma_f64 v[22:23], v[22:23], v[24:25], v[22:23]
	v_fma_f64 v[24:25], -v[20:21], v[22:23], 1.0
	s_delay_alu instid0(VALU_DEP_1) | instskip(NEXT) | instid1(VALU_DEP_1)
	v_fma_f64 v[18:19], v[22:23], v[24:25], v[22:23]
	v_mul_f64 v[22:23], v[12:13], v[18:19]
	s_delay_alu instid0(VALU_DEP_1) | instskip(NEXT) | instid1(VALU_DEP_1)
	v_fma_f64 v[12:13], -v[20:21], v[22:23], v[12:13]
	v_div_fmas_f64 v[12:13], v[12:13], v[18:19], v[22:23]
	s_delay_alu instid0(VALU_DEP_1) | instskip(NEXT) | instid1(VALU_DEP_1)
	v_div_fixup_f64 v[12:13], v[12:13], |v[16:17]|, |v[14:15]|
	v_fma_f64 v[12:13], v[12:13], v[12:13], 1.0
	s_delay_alu instid0(VALU_DEP_1) | instskip(SKIP_3) | instid1(VALU_DEP_1)
	v_cmp_gt_f64_e32 vcc_lo, 0x10000000, v[12:13]
	v_cndmask_b32_e64 v3, 0, 1, vcc_lo
	s_and_b32 s4, vcc_lo, exec_lo
	s_cselect_b32 s4, 0xffffff80, 0
	v_lshlrev_b32_e32 v3, 8, v3
	s_delay_alu instid0(VALU_DEP_1) | instskip(NEXT) | instid1(VALU_DEP_1)
	v_ldexp_f64 v[12:13], v[12:13], v3
	v_rsq_f64_e32 v[18:19], v[12:13]
	v_cmp_class_f64_e64 vcc_lo, v[12:13], 0x260
	s_waitcnt_depctr 0xfff
	v_mul_f64 v[20:21], v[12:13], v[18:19]
	v_mul_f64 v[18:19], v[18:19], 0.5
	s_delay_alu instid0(VALU_DEP_1) | instskip(NEXT) | instid1(VALU_DEP_1)
	v_fma_f64 v[22:23], -v[18:19], v[20:21], 0.5
	v_fma_f64 v[20:21], v[20:21], v[22:23], v[20:21]
	v_fma_f64 v[18:19], v[18:19], v[22:23], v[18:19]
	s_delay_alu instid0(VALU_DEP_2) | instskip(NEXT) | instid1(VALU_DEP_1)
	v_fma_f64 v[22:23], -v[20:21], v[20:21], v[12:13]
	v_fma_f64 v[20:21], v[22:23], v[18:19], v[20:21]
	s_delay_alu instid0(VALU_DEP_1) | instskip(NEXT) | instid1(VALU_DEP_1)
	v_fma_f64 v[22:23], -v[20:21], v[20:21], v[12:13]
	v_fma_f64 v[18:19], v[22:23], v[18:19], v[20:21]
	s_delay_alu instid0(VALU_DEP_1) | instskip(NEXT) | instid1(VALU_DEP_1)
	v_ldexp_f64 v[18:19], v[18:19], s4
	v_dual_cndmask_b32 v12, v18, v12 :: v_dual_cndmask_b32 v13, v19, v13
	s_delay_alu instid0(VALU_DEP_1)
	v_mul_f64 v[12:13], |v[16:17]|, v[12:13]
.LBB2_83:                               ;   in Loop: Header=BB2_49 Depth=2
	s_cbranch_execnz .LBB2_85
.LBB2_84:                               ;   in Loop: Header=BB2_49 Depth=2
	v_dual_mov_b32 v12, v16 :: v_dual_and_b32 v13, 0x7fffffff, v17
	v_dual_mov_b32 v18, v14 :: v_dual_and_b32 v19, 0x7fffffff, v15
	s_delay_alu instid0(VALU_DEP_1) | instskip(SKIP_1) | instid1(VALU_DEP_2)
	v_div_scale_f64 v[20:21], null, v[18:19], v[18:19], v[12:13]
	v_div_scale_f64 v[12:13], vcc_lo, v[12:13], v[18:19], v[12:13]
	v_rcp_f64_e32 v[22:23], v[20:21]
	s_waitcnt_depctr 0xfff
	v_fma_f64 v[24:25], -v[20:21], v[22:23], 1.0
	s_delay_alu instid0(VALU_DEP_1) | instskip(NEXT) | instid1(VALU_DEP_1)
	v_fma_f64 v[22:23], v[22:23], v[24:25], v[22:23]
	v_fma_f64 v[24:25], -v[20:21], v[22:23], 1.0
	s_delay_alu instid0(VALU_DEP_1) | instskip(NEXT) | instid1(VALU_DEP_1)
	v_fma_f64 v[18:19], v[22:23], v[24:25], v[22:23]
	v_mul_f64 v[22:23], v[12:13], v[18:19]
	s_delay_alu instid0(VALU_DEP_1) | instskip(NEXT) | instid1(VALU_DEP_1)
	v_fma_f64 v[12:13], -v[20:21], v[22:23], v[12:13]
	v_div_fmas_f64 v[12:13], v[12:13], v[18:19], v[22:23]
	s_delay_alu instid0(VALU_DEP_1) | instskip(NEXT) | instid1(VALU_DEP_1)
	v_div_fixup_f64 v[12:13], v[12:13], |v[14:15]|, |v[16:17]|
	v_fma_f64 v[12:13], v[12:13], v[12:13], 1.0
	s_delay_alu instid0(VALU_DEP_1) | instskip(SKIP_3) | instid1(VALU_DEP_1)
	v_cmp_gt_f64_e32 vcc_lo, 0x10000000, v[12:13]
	v_cndmask_b32_e64 v3, 0, 1, vcc_lo
	s_and_b32 s4, vcc_lo, exec_lo
	s_cselect_b32 s4, 0xffffff80, 0
	v_lshlrev_b32_e32 v3, 8, v3
	s_delay_alu instid0(VALU_DEP_1) | instskip(NEXT) | instid1(VALU_DEP_1)
	v_ldexp_f64 v[12:13], v[12:13], v3
	v_rsq_f64_e32 v[16:17], v[12:13]
	v_cmp_class_f64_e64 vcc_lo, v[12:13], 0x260
	s_waitcnt_depctr 0xfff
	v_mul_f64 v[18:19], v[12:13], v[16:17]
	v_mul_f64 v[16:17], v[16:17], 0.5
	s_delay_alu instid0(VALU_DEP_1) | instskip(NEXT) | instid1(VALU_DEP_1)
	v_fma_f64 v[20:21], -v[16:17], v[18:19], 0.5
	v_fma_f64 v[18:19], v[18:19], v[20:21], v[18:19]
	v_fma_f64 v[16:17], v[16:17], v[20:21], v[16:17]
	s_delay_alu instid0(VALU_DEP_2) | instskip(NEXT) | instid1(VALU_DEP_1)
	v_fma_f64 v[20:21], -v[18:19], v[18:19], v[12:13]
	v_fma_f64 v[18:19], v[20:21], v[16:17], v[18:19]
	s_delay_alu instid0(VALU_DEP_1) | instskip(NEXT) | instid1(VALU_DEP_1)
	v_fma_f64 v[20:21], -v[18:19], v[18:19], v[12:13]
	v_fma_f64 v[16:17], v[20:21], v[16:17], v[18:19]
	s_delay_alu instid0(VALU_DEP_1) | instskip(NEXT) | instid1(VALU_DEP_1)
	v_ldexp_f64 v[16:17], v[16:17], s4
	v_dual_cndmask_b32 v12, v16, v12 :: v_dual_cndmask_b32 v13, v17, v13
	s_delay_alu instid0(VALU_DEP_1)
	v_mul_f64 v[12:13], |v[14:15]|, v[12:13]
.LBB2_85:                               ;   in Loop: Header=BB2_49 Depth=2
	v_add_f64 v[16:17], v[6:7], v[10:11]
	v_cmp_gt_f64_e64 vcc_lo, |v[6:7]|, |v[10:11]|
	s_delay_alu instid0(VALU_DEP_2) | instskip(SKIP_2) | instid1(VALU_DEP_3)
	v_cmp_ngt_f64_e64 s4, 0, v[16:17]
	v_dual_cndmask_b32 v15, v7, v11 :: v_dual_cndmask_b32 v14, v6, v10
	v_dual_cndmask_b32 v7, v11, v7 :: v_dual_cndmask_b32 v6, v10, v6
	s_and_b32 vcc_lo, exec_lo, s4
	s_cbranch_vccz .LBB2_88
; %bb.86:                               ;   in Loop: Header=BB2_49 Depth=2
	v_cmp_nlt_f64_e32 vcc_lo, 0, v[16:17]
	s_cbranch_vccz .LBB2_89
; %bb.87:                               ;   in Loop: Header=BB2_49 Depth=2
	v_mul_f64 v[10:11], v[12:13], 0.5
	v_mul_f64 v[18:19], v[12:13], -0.5
	s_cbranch_execz .LBB2_90
	s_branch .LBB2_91
.LBB2_88:                               ;   in Loop: Header=BB2_49 Depth=2
                                        ; implicit-def: $vgpr18_vgpr19
                                        ; implicit-def: $vgpr10_vgpr11
	s_branch .LBB2_92
.LBB2_89:                               ;   in Loop: Header=BB2_49 Depth=2
                                        ; implicit-def: $vgpr18_vgpr19
                                        ; implicit-def: $vgpr10_vgpr11
.LBB2_90:                               ;   in Loop: Header=BB2_49 Depth=2
	v_add_f64 v[10:11], v[16:17], v[12:13]
	s_delay_alu instid0(VALU_DEP_1) | instskip(NEXT) | instid1(VALU_DEP_1)
	v_mul_f64 v[10:11], v[10:11], 0.5
	v_div_scale_f64 v[18:19], null, v[10:11], v[10:11], v[6:7]
	v_div_scale_f64 v[20:21], null, v[10:11], v[10:11], v[8:9]
	v_div_scale_f64 v[30:31], vcc_lo, v[6:7], v[10:11], v[6:7]
	s_delay_alu instid0(VALU_DEP_3) | instskip(NEXT) | instid1(VALU_DEP_2)
	v_rcp_f64_e32 v[22:23], v[18:19]
	v_rcp_f64_e32 v[24:25], v[20:21]
	s_waitcnt_depctr 0xfff
	v_fma_f64 v[26:27], -v[18:19], v[22:23], 1.0
	v_fma_f64 v[28:29], -v[20:21], v[24:25], 1.0
	s_delay_alu instid0(VALU_DEP_2) | instskip(NEXT) | instid1(VALU_DEP_2)
	v_fma_f64 v[22:23], v[22:23], v[26:27], v[22:23]
	v_fma_f64 v[24:25], v[24:25], v[28:29], v[24:25]
	s_delay_alu instid0(VALU_DEP_2) | instskip(NEXT) | instid1(VALU_DEP_2)
	v_fma_f64 v[26:27], -v[18:19], v[22:23], 1.0
	v_fma_f64 v[28:29], -v[20:21], v[24:25], 1.0
	s_delay_alu instid0(VALU_DEP_2) | instskip(SKIP_1) | instid1(VALU_DEP_3)
	v_fma_f64 v[22:23], v[22:23], v[26:27], v[22:23]
	v_div_scale_f64 v[26:27], s4, v[8:9], v[10:11], v[8:9]
	v_fma_f64 v[24:25], v[24:25], v[28:29], v[24:25]
	s_delay_alu instid0(VALU_DEP_3) | instskip(NEXT) | instid1(VALU_DEP_2)
	v_mul_f64 v[28:29], v[30:31], v[22:23]
	v_mul_f64 v[32:33], v[26:27], v[24:25]
	s_delay_alu instid0(VALU_DEP_2) | instskip(NEXT) | instid1(VALU_DEP_2)
	v_fma_f64 v[18:19], -v[18:19], v[28:29], v[30:31]
	v_fma_f64 v[20:21], -v[20:21], v[32:33], v[26:27]
	s_delay_alu instid0(VALU_DEP_2) | instskip(SKIP_1) | instid1(VALU_DEP_2)
	v_div_fmas_f64 v[18:19], v[18:19], v[22:23], v[28:29]
	s_mov_b32 vcc_lo, s4
	v_div_fmas_f64 v[20:21], v[20:21], v[24:25], v[32:33]
	s_delay_alu instid0(VALU_DEP_2) | instskip(NEXT) | instid1(VALU_DEP_2)
	v_div_fixup_f64 v[18:19], v[18:19], v[10:11], v[6:7]
	v_div_fixup_f64 v[20:21], v[20:21], v[10:11], v[8:9]
	s_delay_alu instid0(VALU_DEP_1) | instskip(NEXT) | instid1(VALU_DEP_1)
	v_mul_f64 v[20:21], v[8:9], v[20:21]
	v_fma_f64 v[18:19], v[14:15], v[18:19], -v[20:21]
.LBB2_91:                               ;   in Loop: Header=BB2_49 Depth=2
	s_cbranch_execnz .LBB2_93
.LBB2_92:                               ;   in Loop: Header=BB2_49 Depth=2
	v_add_f64 v[10:11], v[16:17], -v[12:13]
	s_delay_alu instid0(VALU_DEP_1) | instskip(NEXT) | instid1(VALU_DEP_1)
	v_mul_f64 v[10:11], v[10:11], 0.5
	v_div_scale_f64 v[12:13], null, v[10:11], v[10:11], v[6:7]
	v_div_scale_f64 v[16:17], null, v[10:11], v[10:11], v[8:9]
	v_div_scale_f64 v[26:27], vcc_lo, v[6:7], v[10:11], v[6:7]
	s_delay_alu instid0(VALU_DEP_3) | instskip(NEXT) | instid1(VALU_DEP_2)
	v_rcp_f64_e32 v[18:19], v[12:13]
	v_rcp_f64_e32 v[20:21], v[16:17]
	s_waitcnt_depctr 0xfff
	v_fma_f64 v[22:23], -v[12:13], v[18:19], 1.0
	v_fma_f64 v[24:25], -v[16:17], v[20:21], 1.0
	s_delay_alu instid0(VALU_DEP_2) | instskip(NEXT) | instid1(VALU_DEP_2)
	v_fma_f64 v[18:19], v[18:19], v[22:23], v[18:19]
	v_fma_f64 v[20:21], v[20:21], v[24:25], v[20:21]
	s_delay_alu instid0(VALU_DEP_2) | instskip(NEXT) | instid1(VALU_DEP_2)
	v_fma_f64 v[22:23], -v[12:13], v[18:19], 1.0
	v_fma_f64 v[24:25], -v[16:17], v[20:21], 1.0
	s_delay_alu instid0(VALU_DEP_2) | instskip(SKIP_1) | instid1(VALU_DEP_3)
	v_fma_f64 v[18:19], v[18:19], v[22:23], v[18:19]
	v_div_scale_f64 v[22:23], s4, v[8:9], v[10:11], v[8:9]
	v_fma_f64 v[20:21], v[20:21], v[24:25], v[20:21]
	s_delay_alu instid0(VALU_DEP_3) | instskip(NEXT) | instid1(VALU_DEP_2)
	v_mul_f64 v[24:25], v[26:27], v[18:19]
	v_mul_f64 v[28:29], v[22:23], v[20:21]
	s_delay_alu instid0(VALU_DEP_2) | instskip(NEXT) | instid1(VALU_DEP_2)
	v_fma_f64 v[12:13], -v[12:13], v[24:25], v[26:27]
	v_fma_f64 v[16:17], -v[16:17], v[28:29], v[22:23]
	s_delay_alu instid0(VALU_DEP_2) | instskip(SKIP_1) | instid1(VALU_DEP_2)
	v_div_fmas_f64 v[12:13], v[12:13], v[18:19], v[24:25]
	s_mov_b32 vcc_lo, s4
	v_div_fmas_f64 v[16:17], v[16:17], v[20:21], v[28:29]
	s_delay_alu instid0(VALU_DEP_2) | instskip(NEXT) | instid1(VALU_DEP_2)
	v_div_fixup_f64 v[6:7], v[12:13], v[10:11], v[6:7]
	v_div_fixup_f64 v[16:17], v[16:17], v[10:11], v[8:9]
	s_delay_alu instid0(VALU_DEP_1) | instskip(NEXT) | instid1(VALU_DEP_1)
	v_mul_f64 v[8:9], v[8:9], v[16:17]
	v_fma_f64 v[18:19], v[14:15], v[6:7], -v[8:9]
.LBB2_93:                               ;   in Loop: Header=BB2_49 Depth=2
	v_mov_b32_e32 v3, v2
	s_add_i32 s4, s30, 2
	s_mov_b32 s5, -1
	s_mov_b32 s42, s29
	s_clause 0x2
	global_store_b64 v2, v[10:11], s[34:35]
	global_store_b64 v2, v[18:19], s[36:37]
	;; [unrolled: 1-line block ×3, first 2 shown]
                                        ; implicit-def: $sgpr37
.LBB2_94:                               ;   in Loop: Header=BB2_49 Depth=2
	s_mov_b32 s29, s42
	s_and_b32 vcc_lo, exec_lo, s5
	s_cbranch_vccz .LBB2_48
.LBB2_95:                               ;   in Loop: Header=BB2_49 Depth=2
	s_cmp_gt_i32 s4, s69
	s_mov_b32 s37, s29
	s_cselect_b32 s5, -1, 0
	s_cmp_ge_i32 s29, s50
	s_cselect_b32 s30, -1, 0
	s_delay_alu instid0(SALU_CYCLE_1)
	s_or_b32 s31, s5, s30
	s_branch .LBB2_48
.LBB2_96:                               ;   in Loop: Header=BB2_97 Depth=2
	s_and_not1_b32 vcc_lo, exec_lo, s29
	s_mov_b32 s28, s3
	s_cbranch_vccz .LBB2_143
.LBB2_97:                               ;   Parent Loop BB2_4 Depth=1
                                        ; =>  This Loop Header: Depth=2
                                        ;       Child Loop BB2_99 Depth 3
                                        ;       Child Loop BB2_112 Depth 3
	s_ashr_i32 s29, s28, 31
	s_min_i32 s30, s69, s28
	s_lshl_b64 s[34:35], s[28:29], 3
	s_mov_b32 s31, s28
	s_add_u32 s36, s60, s34
	s_addc_u32 s37, s61, s35
	s_add_u32 s4, s64, s34
	s_addc_u32 s5, s65, s35
	s_branch .LBB2_99
	.p2align	6
.LBB2_98:                               ;   in Loop: Header=BB2_99 Depth=3
	s_delay_alu instid0(VALU_DEP_1)
	s_and_not1_b32 vcc_lo, exec_lo, s38
	s_cbranch_vccz .LBB2_101
.LBB2_99:                               ;   Parent Loop BB2_4 Depth=1
                                        ;     Parent Loop BB2_97 Depth=2
                                        ; =>    This Inner Loop Header: Depth=3
	s_mov_b32 s3, s31
	s_mov_b32 s29, -1
	s_cmp_le_i32 s31, s69
	s_mov_b32 s38, -1
                                        ; implicit-def: $sgpr31
	s_cbranch_scc1 .LBB2_98
; %bb.100:                              ;   in Loop: Header=BB2_99 Depth=3
	s_clause 0x1
	global_load_b128 v[6:9], v2, s[36:37] offset:-8
	global_load_b64 v[10:11], v2, s[4:5] offset:-16
	s_add_i32 s31, s3, -1
	s_add_u32 s36, s36, -8
	s_addc_u32 s37, s37, -1
	s_add_u32 s4, s4, -8
	s_addc_u32 s5, s5, -1
	s_mov_b32 s29, 0
	s_waitcnt vmcnt(1)
	v_mul_f64 v[6:7], v[8:9], v[6:7]
	s_delay_alu instid0(VALU_DEP_1) | instskip(SKIP_1) | instid1(VALU_DEP_1)
	v_mul_f64 v[6:7], v[0:1], |v[6:7]|
	s_waitcnt vmcnt(0)
	v_cmp_le_f64_e64 s38, |v[10:11]|, v[6:7]
	s_branch .LBB2_98
.LBB2_101:                              ;   in Loop: Header=BB2_97 Depth=2
	s_and_not1_b32 vcc_lo, exec_lo, s29
	s_cbranch_vccz .LBB2_103
; %bb.102:                              ;   in Loop: Header=BB2_97 Depth=2
	v_mov_b32_e32 v3, v2
	s_mov_b32 s30, s3
	global_store_b64 v2, v[2:3], s[4:5] offset:-8
.LBB2_103:                              ;   in Loop: Header=BB2_97 Depth=2
	s_add_i32 s3, s28, -1
	s_cmp_eq_u32 s30, s28
	s_mov_b32 s29, -1
	s_cbranch_scc1 .LBB2_118
; %bb.104:                              ;   in Loop: Header=BB2_97 Depth=2
	s_add_u32 s4, s48, s34
	s_addc_u32 s5, s49, s35
	s_cmp_lg_u32 s30, s3
	global_load_b64 v[6:7], v2, s[4:5]
	s_cbranch_scc0 .LBB2_119
; %bb.105:                              ;   in Loop: Header=BB2_97 Depth=2
	s_mov_b32 s40, 0
	s_cmp_lg_u32 s67, s50
	s_mov_b32 s36, 0
                                        ; implicit-def: $sgpr37
	s_cbranch_scc0 .LBB2_123
; %bb.106:                              ;   in Loop: Header=BB2_97 Depth=2
	s_add_u32 s34, s52, s34
	s_addc_u32 s35, s53, s35
	s_clause 0x1
	global_load_b64 v[8:9], v2, s[34:35]
	global_load_b64 v[10:11], v2, s[4:5] offset:-8
	s_waitcnt vmcnt(1)
	v_cmp_gt_f64_e32 vcc_lo, 0x10000000, v[8:9]
	s_waitcnt vmcnt(0)
	v_add_f64 v[10:11], v[10:11], -v[6:7]
	v_cndmask_b32_e64 v3, 0, 1, vcc_lo
	s_and_b32 s3, vcc_lo, exec_lo
	s_cselect_b32 s3, 0xffffff80, 0
	s_delay_alu instid0(VALU_DEP_1) | instskip(NEXT) | instid1(VALU_DEP_1)
	v_lshlrev_b32_e32 v3, 8, v3
	v_ldexp_f64 v[8:9], v[8:9], v3
	s_delay_alu instid0(VALU_DEP_1) | instskip(SKIP_4) | instid1(VALU_DEP_1)
	v_rsq_f64_e32 v[12:13], v[8:9]
	v_cmp_class_f64_e64 vcc_lo, v[8:9], 0x260
	s_waitcnt_depctr 0xfff
	v_mul_f64 v[14:15], v[8:9], v[12:13]
	v_mul_f64 v[12:13], v[12:13], 0.5
	v_fma_f64 v[16:17], -v[12:13], v[14:15], 0.5
	s_delay_alu instid0(VALU_DEP_1) | instskip(SKIP_1) | instid1(VALU_DEP_2)
	v_fma_f64 v[14:15], v[14:15], v[16:17], v[14:15]
	v_fma_f64 v[12:13], v[12:13], v[16:17], v[12:13]
	v_fma_f64 v[16:17], -v[14:15], v[14:15], v[8:9]
	s_delay_alu instid0(VALU_DEP_1) | instskip(NEXT) | instid1(VALU_DEP_1)
	v_fma_f64 v[14:15], v[16:17], v[12:13], v[14:15]
	v_fma_f64 v[16:17], -v[14:15], v[14:15], v[8:9]
	s_delay_alu instid0(VALU_DEP_1) | instskip(NEXT) | instid1(VALU_DEP_1)
	v_fma_f64 v[12:13], v[16:17], v[12:13], v[14:15]
	v_ldexp_f64 v[12:13], v[12:13], s3
	s_delay_alu instid0(VALU_DEP_1) | instskip(NEXT) | instid1(VALU_DEP_1)
	v_dual_cndmask_b32 v8, v12, v8 :: v_dual_cndmask_b32 v9, v13, v9
	v_add_f64 v[12:13], v[8:9], v[8:9]
	s_delay_alu instid0(VALU_DEP_1) | instskip(SKIP_1) | instid1(VALU_DEP_2)
	v_div_scale_f64 v[14:15], null, v[12:13], v[12:13], v[10:11]
	v_div_scale_f64 v[20:21], vcc_lo, v[10:11], v[12:13], v[10:11]
	v_rcp_f64_e32 v[16:17], v[14:15]
	s_waitcnt_depctr 0xfff
	v_fma_f64 v[18:19], -v[14:15], v[16:17], 1.0
	s_delay_alu instid0(VALU_DEP_1) | instskip(NEXT) | instid1(VALU_DEP_1)
	v_fma_f64 v[16:17], v[16:17], v[18:19], v[16:17]
	v_fma_f64 v[18:19], -v[14:15], v[16:17], 1.0
	s_delay_alu instid0(VALU_DEP_1) | instskip(NEXT) | instid1(VALU_DEP_1)
	v_fma_f64 v[16:17], v[16:17], v[18:19], v[16:17]
	v_mul_f64 v[18:19], v[20:21], v[16:17]
	s_delay_alu instid0(VALU_DEP_1) | instskip(NEXT) | instid1(VALU_DEP_1)
	v_fma_f64 v[14:15], -v[14:15], v[18:19], v[20:21]
	v_div_fmas_f64 v[14:15], v[14:15], v[16:17], v[18:19]
	s_delay_alu instid0(VALU_DEP_1) | instskip(NEXT) | instid1(VALU_DEP_1)
	v_div_fixup_f64 v[10:11], v[14:15], v[12:13], v[10:11]
	v_fma_f64 v[12:13], v[10:11], v[10:11], 1.0
	s_delay_alu instid0(VALU_DEP_1) | instskip(SKIP_4) | instid1(VALU_DEP_1)
	v_cmp_gt_f64_e32 vcc_lo, 0x10000000, v[12:13]
	v_cndmask_b32_e64 v3, 0, 1, vcc_lo
	s_and_b32 s3, vcc_lo, exec_lo
	s_cselect_b32 s3, 0xffffff80, 0
	s_ashr_i32 s31, s30, 31
	v_lshlrev_b32_e32 v3, 8, v3
	s_lshl_b64 s[38:39], s[30:31], 3
	s_delay_alu instid0(SALU_CYCLE_1) | instskip(SKIP_1) | instid1(VALU_DEP_1)
	s_add_u32 s36, s48, s38
	s_addc_u32 s37, s49, s39
	v_ldexp_f64 v[12:13], v[12:13], v3
	s_cmp_ge_i32 s30, s28
	s_delay_alu instid0(VALU_DEP_1) | instskip(SKIP_4) | instid1(VALU_DEP_1)
	v_rsq_f64_e32 v[14:15], v[12:13]
	v_cmp_class_f64_e64 vcc_lo, v[12:13], 0x260
	s_waitcnt_depctr 0xfff
	v_mul_f64 v[16:17], v[12:13], v[14:15]
	v_mul_f64 v[14:15], v[14:15], 0.5
	v_fma_f64 v[18:19], -v[14:15], v[16:17], 0.5
	s_delay_alu instid0(VALU_DEP_1) | instskip(SKIP_1) | instid1(VALU_DEP_2)
	v_fma_f64 v[16:17], v[16:17], v[18:19], v[16:17]
	v_fma_f64 v[14:15], v[14:15], v[18:19], v[14:15]
	v_fma_f64 v[18:19], -v[16:17], v[16:17], v[12:13]
	s_delay_alu instid0(VALU_DEP_1) | instskip(NEXT) | instid1(VALU_DEP_1)
	v_fma_f64 v[16:17], v[18:19], v[14:15], v[16:17]
	v_fma_f64 v[18:19], -v[16:17], v[16:17], v[12:13]
	s_delay_alu instid0(VALU_DEP_1) | instskip(SKIP_2) | instid1(VALU_DEP_1)
	v_fma_f64 v[14:15], v[18:19], v[14:15], v[16:17]
	global_load_b64 v[18:19], v2, s[36:37]
	v_ldexp_f64 v[14:15], v[14:15], s3
	v_dual_cndmask_b32 v3, v15, v13 :: v_dual_cndmask_b32 v12, v14, v12
	v_cmp_nle_f64_e32 vcc_lo, 0, v[10:11]
	s_delay_alu instid0(VALU_DEP_2) | instskip(SKIP_1) | instid1(VALU_DEP_1)
	v_and_b32_e32 v13, 0x7fffffff, v3
	v_or_b32_e32 v3, 0x80000000, v3
	v_cndmask_b32_e32 v13, v13, v3, vcc_lo
	s_delay_alu instid0(VALU_DEP_1) | instskip(NEXT) | instid1(VALU_DEP_1)
	v_add_f64 v[10:11], v[10:11], v[12:13]
	v_div_scale_f64 v[12:13], null, v[10:11], v[10:11], v[8:9]
	s_delay_alu instid0(VALU_DEP_1) | instskip(SKIP_2) | instid1(VALU_DEP_1)
	v_rcp_f64_e32 v[14:15], v[12:13]
	s_waitcnt_depctr 0xfff
	v_fma_f64 v[16:17], -v[12:13], v[14:15], 1.0
	v_fma_f64 v[14:15], v[14:15], v[16:17], v[14:15]
	s_delay_alu instid0(VALU_DEP_1) | instskip(NEXT) | instid1(VALU_DEP_1)
	v_fma_f64 v[16:17], -v[12:13], v[14:15], 1.0
	v_fma_f64 v[14:15], v[14:15], v[16:17], v[14:15]
	v_div_scale_f64 v[16:17], vcc_lo, v[8:9], v[10:11], v[8:9]
	s_delay_alu instid0(VALU_DEP_1) | instskip(NEXT) | instid1(VALU_DEP_1)
	v_mul_f64 v[20:21], v[16:17], v[14:15]
	v_fma_f64 v[12:13], -v[12:13], v[20:21], v[16:17]
	s_delay_alu instid0(VALU_DEP_1) | instskip(NEXT) | instid1(VALU_DEP_1)
	v_div_fmas_f64 v[12:13], v[12:13], v[14:15], v[20:21]
	v_div_fixup_f64 v[8:9], v[12:13], v[10:11], v[8:9]
	v_mov_b32_e32 v12, 0
	v_mov_b32_e32 v13, 0
	s_delay_alu instid0(VALU_DEP_3) | instskip(SKIP_1) | instid1(VALU_DEP_1)
	v_add_f64 v[8:9], v[6:7], -v[8:9]
	s_waitcnt vmcnt(0)
	v_add_f64 v[14:15], v[18:19], -v[8:9]
	s_delay_alu instid0(VALU_DEP_1)
	v_mul_f64 v[16:17], v[14:15], v[14:15]
	s_cbranch_scc1 .LBB2_122
; %bb.107:                              ;   in Loop: Header=BB2_97 Depth=2
	s_add_u32 s38, s10, s38
	s_addc_u32 s39, s11, s39
	s_clause 0x1
	global_load_b64 v[10:11], v2, s[38:39]
	global_load_b64 v[20:21], v2, s[36:37] offset:8
	s_waitcnt vmcnt(1)
	v_add_f64 v[18:19], v[16:17], v[10:11]
	s_delay_alu instid0(VALU_DEP_1) | instskip(SKIP_2) | instid1(VALU_DEP_3)
	v_div_scale_f64 v[12:13], null, v[18:19], v[18:19], v[16:17]
	v_div_scale_f64 v[22:23], null, v[18:19], v[18:19], v[10:11]
	v_div_scale_f64 v[32:33], vcc_lo, v[16:17], v[18:19], v[16:17]
	v_rcp_f64_e32 v[24:25], v[12:13]
	s_delay_alu instid0(VALU_DEP_2) | instskip(SKIP_3) | instid1(VALU_DEP_2)
	v_rcp_f64_e32 v[26:27], v[22:23]
	s_waitcnt_depctr 0xfff
	v_fma_f64 v[28:29], -v[12:13], v[24:25], 1.0
	v_fma_f64 v[30:31], -v[22:23], v[26:27], 1.0
	v_fma_f64 v[24:25], v[24:25], v[28:29], v[24:25]
	s_delay_alu instid0(VALU_DEP_2) | instskip(NEXT) | instid1(VALU_DEP_2)
	v_fma_f64 v[26:27], v[26:27], v[30:31], v[26:27]
	v_fma_f64 v[28:29], -v[12:13], v[24:25], 1.0
	s_delay_alu instid0(VALU_DEP_2) | instskip(NEXT) | instid1(VALU_DEP_2)
	v_fma_f64 v[30:31], -v[22:23], v[26:27], 1.0
	v_fma_f64 v[24:25], v[24:25], v[28:29], v[24:25]
	v_div_scale_f64 v[28:29], s3, v[10:11], v[18:19], v[10:11]
	s_delay_alu instid0(VALU_DEP_3) | instskip(NEXT) | instid1(VALU_DEP_3)
	v_fma_f64 v[26:27], v[26:27], v[30:31], v[26:27]
	v_mul_f64 v[30:31], v[32:33], v[24:25]
	s_delay_alu instid0(VALU_DEP_2) | instskip(NEXT) | instid1(VALU_DEP_2)
	v_mul_f64 v[34:35], v[28:29], v[26:27]
	v_fma_f64 v[12:13], -v[12:13], v[30:31], v[32:33]
	s_delay_alu instid0(VALU_DEP_2) | instskip(NEXT) | instid1(VALU_DEP_2)
	v_fma_f64 v[22:23], -v[22:23], v[34:35], v[28:29]
	v_div_fmas_f64 v[24:25], v[12:13], v[24:25], v[30:31]
	s_mov_b32 vcc_lo, s3
	s_delay_alu instid0(VALU_DEP_2) | instskip(SKIP_2) | instid1(VALU_DEP_3)
	v_div_fmas_f64 v[12:13], v[22:23], v[26:27], v[34:35]
	s_waitcnt vmcnt(0)
	v_add_f64 v[22:23], v[20:21], -v[8:9]
	v_div_fixup_f64 v[16:17], v[24:25], v[18:19], v[16:17]
	s_delay_alu instid0(VALU_DEP_3) | instskip(NEXT) | instid1(VALU_DEP_2)
	v_div_fixup_f64 v[12:13], v[12:13], v[18:19], v[10:11]
	v_cmp_eq_f64_e32 vcc_lo, 0, v[16:17]
	s_delay_alu instid0(VALU_DEP_2) | instskip(SKIP_1) | instid1(VALU_DEP_1)
	v_mul_f64 v[18:19], v[14:15], v[12:13]
	s_and_b32 vcc_lo, exec_lo, vcc_lo
	v_fma_f64 v[18:19], v[16:17], v[22:23], -v[18:19]
	s_delay_alu instid0(VALU_DEP_1) | instskip(NEXT) | instid1(VALU_DEP_1)
	v_add_f64 v[20:21], v[20:21], -v[18:19]
	v_add_f64 v[14:15], v[14:15], v[20:21]
	global_store_b64 v2, v[14:15], s[36:37]
	s_cbranch_vccnz .LBB2_109
; %bb.108:                              ;   in Loop: Header=BB2_97 Depth=2
	v_mul_f64 v[10:11], v[18:19], v[18:19]
	s_delay_alu instid0(VALU_DEP_1) | instskip(NEXT) | instid1(VALU_DEP_1)
	v_div_scale_f64 v[14:15], null, v[16:17], v[16:17], v[10:11]
	v_rcp_f64_e32 v[20:21], v[14:15]
	s_waitcnt_depctr 0xfff
	v_fma_f64 v[22:23], -v[14:15], v[20:21], 1.0
	s_delay_alu instid0(VALU_DEP_1) | instskip(NEXT) | instid1(VALU_DEP_1)
	v_fma_f64 v[20:21], v[20:21], v[22:23], v[20:21]
	v_fma_f64 v[22:23], -v[14:15], v[20:21], 1.0
	s_delay_alu instid0(VALU_DEP_1) | instskip(SKIP_1) | instid1(VALU_DEP_1)
	v_fma_f64 v[20:21], v[20:21], v[22:23], v[20:21]
	v_div_scale_f64 v[22:23], vcc_lo, v[10:11], v[16:17], v[10:11]
	v_mul_f64 v[24:25], v[22:23], v[20:21]
	s_delay_alu instid0(VALU_DEP_1) | instskip(NEXT) | instid1(VALU_DEP_1)
	v_fma_f64 v[14:15], -v[14:15], v[24:25], v[22:23]
	v_div_fmas_f64 v[14:15], v[14:15], v[20:21], v[24:25]
	s_delay_alu instid0(VALU_DEP_1)
	v_div_fixup_f64 v[10:11], v[14:15], v[16:17], v[10:11]
.LBB2_109:                              ;   in Loop: Header=BB2_97 Depth=2
	s_add_i32 s36, s30, 1
	s_delay_alu instid0(SALU_CYCLE_1)
	s_cmp_ge_i32 s36, s28
	s_cbranch_scc1 .LBB2_120
; %bb.110:                              ;   in Loop: Header=BB2_97 Depth=2
	s_ashr_i32 s37, s36, 31
	s_mov_b32 s31, 1
	s_lshl_b64 s[38:39], s[36:37], 3
	s_delay_alu instid0(SALU_CYCLE_1)
	s_add_u32 s36, s56, s38
	s_addc_u32 s37, s57, s39
	s_add_u32 s38, s62, s38
	s_addc_u32 s39, s63, s39
	global_load_b64 v[20:21], v2, s[36:37]
	s_cmp_eq_u32 s31, 0
	s_waitcnt vmcnt(0)
	v_add_f64 v[14:15], v[10:11], v[20:21]
	s_cbranch_scc1 .LBB2_112
.LBB2_111:                              ;   in Loop: Header=BB2_97 Depth=2
	s_delay_alu instid0(VALU_DEP_1)
	v_mul_f64 v[12:13], v[12:13], v[14:15]
	global_store_b64 v2, v[12:13], s[36:37] offset:-8
.LBB2_112:                              ;   Parent Loop BB2_4 Depth=1
                                        ;     Parent Loop BB2_97 Depth=2
                                        ; =>    This Inner Loop Header: Depth=3
	s_delay_alu instid0(VALU_DEP_1)
	v_div_scale_f64 v[12:13], null, v[14:15], v[14:15], v[10:11]
	v_div_scale_f64 v[22:23], null, v[14:15], v[14:15], v[20:21]
	global_load_b64 v[28:29], v2, s[38:39]
	v_div_scale_f64 v[34:35], vcc_lo, v[10:11], v[14:15], v[10:11]
	v_rcp_f64_e32 v[24:25], v[12:13]
	v_rcp_f64_e32 v[26:27], v[22:23]
	s_waitcnt_depctr 0xfff
	v_fma_f64 v[30:31], -v[12:13], v[24:25], 1.0
	v_fma_f64 v[32:33], -v[22:23], v[26:27], 1.0
	s_delay_alu instid0(VALU_DEP_2) | instskip(NEXT) | instid1(VALU_DEP_2)
	v_fma_f64 v[24:25], v[24:25], v[30:31], v[24:25]
	v_fma_f64 v[26:27], v[26:27], v[32:33], v[26:27]
	s_delay_alu instid0(VALU_DEP_2) | instskip(NEXT) | instid1(VALU_DEP_2)
	v_fma_f64 v[30:31], -v[12:13], v[24:25], 1.0
	v_fma_f64 v[32:33], -v[22:23], v[26:27], 1.0
	s_delay_alu instid0(VALU_DEP_2) | instskip(SKIP_1) | instid1(VALU_DEP_3)
	v_fma_f64 v[24:25], v[24:25], v[30:31], v[24:25]
	v_div_scale_f64 v[30:31], s3, v[20:21], v[14:15], v[20:21]
	v_fma_f64 v[26:27], v[26:27], v[32:33], v[26:27]
	s_delay_alu instid0(VALU_DEP_3) | instskip(NEXT) | instid1(VALU_DEP_2)
	v_mul_f64 v[32:33], v[34:35], v[24:25]
	v_mul_f64 v[36:37], v[30:31], v[26:27]
	s_delay_alu instid0(VALU_DEP_2) | instskip(NEXT) | instid1(VALU_DEP_2)
	v_fma_f64 v[12:13], -v[12:13], v[32:33], v[34:35]
	v_fma_f64 v[22:23], -v[22:23], v[36:37], v[30:31]
	s_delay_alu instid0(VALU_DEP_2) | instskip(SKIP_1) | instid1(VALU_DEP_2)
	v_div_fmas_f64 v[24:25], v[12:13], v[24:25], v[32:33]
	s_mov_b32 vcc_lo, s3
	v_div_fmas_f64 v[12:13], v[22:23], v[26:27], v[36:37]
	s_waitcnt vmcnt(0)
	v_add_f64 v[26:27], v[28:29], -v[8:9]
	s_delay_alu instid0(VALU_DEP_3) | instskip(NEXT) | instid1(VALU_DEP_3)
	v_div_fixup_f64 v[22:23], v[24:25], v[14:15], v[10:11]
	v_div_fixup_f64 v[12:13], v[12:13], v[14:15], v[20:21]
	s_delay_alu instid0(VALU_DEP_2) | instskip(NEXT) | instid1(VALU_DEP_2)
	v_cmp_eq_f64_e32 vcc_lo, 0, v[22:23]
	v_mul_f64 v[10:11], v[18:19], v[12:13]
	s_and_b32 vcc_lo, exec_lo, vcc_lo
	s_delay_alu instid0(VALU_DEP_1) | instskip(NEXT) | instid1(VALU_DEP_1)
	v_fma_f64 v[14:15], v[22:23], v[26:27], -v[10:11]
	v_add_f64 v[10:11], v[28:29], -v[14:15]
	s_delay_alu instid0(VALU_DEP_1)
	v_add_f64 v[10:11], v[18:19], v[10:11]
	global_store_b64 v2, v[10:11], s[38:39] offset:-8
	s_cbranch_vccz .LBB2_117
; %bb.113:                              ;   in Loop: Header=BB2_112 Depth=3
	v_mul_f64 v[10:11], v[16:17], v[20:21]
	s_cbranch_execnz .LBB2_115
.LBB2_114:                              ;   in Loop: Header=BB2_112 Depth=3
	v_mul_f64 v[10:11], v[14:15], v[14:15]
	s_delay_alu instid0(VALU_DEP_1) | instskip(NEXT) | instid1(VALU_DEP_1)
	v_div_scale_f64 v[16:17], null, v[22:23], v[22:23], v[10:11]
	v_rcp_f64_e32 v[18:19], v[16:17]
	s_waitcnt_depctr 0xfff
	v_fma_f64 v[20:21], -v[16:17], v[18:19], 1.0
	s_delay_alu instid0(VALU_DEP_1) | instskip(NEXT) | instid1(VALU_DEP_1)
	v_fma_f64 v[18:19], v[18:19], v[20:21], v[18:19]
	v_fma_f64 v[20:21], -v[16:17], v[18:19], 1.0
	s_delay_alu instid0(VALU_DEP_1) | instskip(SKIP_1) | instid1(VALU_DEP_1)
	v_fma_f64 v[18:19], v[18:19], v[20:21], v[18:19]
	v_div_scale_f64 v[20:21], vcc_lo, v[10:11], v[22:23], v[10:11]
	v_mul_f64 v[24:25], v[20:21], v[18:19]
	s_delay_alu instid0(VALU_DEP_1) | instskip(NEXT) | instid1(VALU_DEP_1)
	v_fma_f64 v[16:17], -v[16:17], v[24:25], v[20:21]
	v_div_fmas_f64 v[16:17], v[16:17], v[18:19], v[24:25]
	s_delay_alu instid0(VALU_DEP_1)
	v_div_fixup_f64 v[10:11], v[16:17], v[22:23], v[10:11]
.LBB2_115:                              ;   in Loop: Header=BB2_112 Depth=3
	s_add_i32 s31, s31, 1
	s_delay_alu instid0(SALU_CYCLE_1)
	s_add_i32 s3, s30, s31
	s_add_u32 s36, s36, 8
	s_addc_u32 s37, s37, 0
	s_add_u32 s38, s38, 8
	s_addc_u32 s39, s39, 0
	s_cmp_ge_i32 s3, s28
	s_cbranch_scc1 .LBB2_121
; %bb.116:                              ;   in Loop: Header=BB2_112 Depth=3
	v_dual_mov_b32 v16, v22 :: v_dual_mov_b32 v17, v23
	v_dual_mov_b32 v19, v15 :: v_dual_mov_b32 v18, v14
	global_load_b64 v[20:21], v2, s[36:37]
	s_cmp_eq_u32 s31, 0
	s_waitcnt vmcnt(0)
	v_add_f64 v[14:15], v[10:11], v[20:21]
	s_cbranch_scc0 .LBB2_111
	s_branch .LBB2_112
.LBB2_117:                              ;   in Loop: Header=BB2_112 Depth=3
                                        ; implicit-def: $vgpr10_vgpr11
	s_branch .LBB2_114
.LBB2_118:                              ;   in Loop: Header=BB2_97 Depth=2
                                        ; implicit-def: $sgpr31
	s_cbranch_execz .LBB2_96
	s_branch .LBB2_142
.LBB2_119:                              ;   in Loop: Header=BB2_97 Depth=2
	s_mov_b32 s36, 0
                                        ; implicit-def: $sgpr31
                                        ; implicit-def: $sgpr3
                                        ; implicit-def: $sgpr37
	s_cbranch_execnz .LBB2_124
	s_branch .LBB2_141
.LBB2_120:                              ;   in Loop: Header=BB2_97 Depth=2
	v_dual_mov_b32 v14, v18 :: v_dual_mov_b32 v15, v19
.LBB2_121:                              ;   in Loop: Header=BB2_97 Depth=2
	s_delay_alu instid0(VALU_DEP_1)
	v_dual_mov_b32 v17, v11 :: v_dual_mov_b32 v16, v10
.LBB2_122:                              ;   in Loop: Header=BB2_97 Depth=2
	s_delay_alu instid0(VALU_DEP_1) | instskip(NEXT) | instid1(VALU_DEP_3)
	v_mul_f64 v[10:11], v[16:17], v[12:13]
	v_add_f64 v[8:9], v[8:9], v[14:15]
	s_add_i32 s37, s67, 1
	s_mov_b32 s36, -1
	s_clause 0x1
	global_store_b64 v2, v[10:11], s[34:35]
	global_store_b64 v2, v[8:9], s[4:5]
.LBB2_123:                              ;   in Loop: Header=BB2_97 Depth=2
	s_mov_b32 s31, s50
	s_mov_b32 s3, s28
	s_and_b32 vcc_lo, exec_lo, s40
	s_cbranch_vccz .LBB2_141
.LBB2_124:                              ;   in Loop: Header=BB2_97 Depth=2
	s_ashr_i32 s31, s30, 31
	s_delay_alu instid0(SALU_CYCLE_1) | instskip(NEXT) | instid1(SALU_CYCLE_1)
	s_lshl_b64 s[34:35], s[30:31], 3
	s_add_u32 s30, s10, s34
	s_addc_u32 s31, s11, s35
	global_load_b64 v[8:9], v2, s[30:31]
	s_waitcnt vmcnt(0)
	v_cmp_gt_f64_e32 vcc_lo, 0x10000000, v[8:9]
	v_cndmask_b32_e64 v3, 0, 1, vcc_lo
	s_and_b32 s3, vcc_lo, exec_lo
	s_cselect_b32 s3, 0xffffff80, 0
	s_add_u32 s34, s48, s34
	s_addc_u32 s35, s49, s35
	v_lshlrev_b32_e32 v3, 8, v3
	global_load_b64 v[10:11], v2, s[34:35]
	v_ldexp_f64 v[8:9], v[8:9], v3
	s_delay_alu instid0(VALU_DEP_1) | instskip(SKIP_4) | instid1(VALU_DEP_1)
	v_rsq_f64_e32 v[12:13], v[8:9]
	v_cmp_class_f64_e64 vcc_lo, v[8:9], 0x260
	s_waitcnt_depctr 0xfff
	v_mul_f64 v[14:15], v[8:9], v[12:13]
	v_mul_f64 v[12:13], v[12:13], 0.5
	v_fma_f64 v[16:17], -v[12:13], v[14:15], 0.5
	s_delay_alu instid0(VALU_DEP_1) | instskip(SKIP_1) | instid1(VALU_DEP_2)
	v_fma_f64 v[14:15], v[14:15], v[16:17], v[14:15]
	v_fma_f64 v[12:13], v[12:13], v[16:17], v[12:13]
	v_fma_f64 v[16:17], -v[14:15], v[14:15], v[8:9]
	s_delay_alu instid0(VALU_DEP_1) | instskip(NEXT) | instid1(VALU_DEP_1)
	v_fma_f64 v[14:15], v[16:17], v[12:13], v[14:15]
	v_fma_f64 v[16:17], -v[14:15], v[14:15], v[8:9]
	s_delay_alu instid0(VALU_DEP_1) | instskip(SKIP_2) | instid1(VALU_DEP_2)
	v_fma_f64 v[12:13], v[16:17], v[12:13], v[14:15]
	s_waitcnt vmcnt(0)
	v_add_f64 v[14:15], v[6:7], -v[10:11]
	v_ldexp_f64 v[12:13], v[12:13], s3
	s_delay_alu instid0(VALU_DEP_1) | instskip(NEXT) | instid1(VALU_DEP_1)
	v_dual_cndmask_b32 v8, v12, v8 :: v_dual_cndmask_b32 v9, v13, v9
	v_add_f64 v[16:17], v[8:9], v[8:9]
	s_delay_alu instid0(VALU_DEP_1) | instskip(NEXT) | instid1(VALU_DEP_1)
	v_cmp_ngt_f64_e64 s3, |v[14:15]|, |v[16:17]|
	s_and_b32 vcc_lo, exec_lo, s3
	s_cbranch_vccz .LBB2_127
; %bb.125:                              ;   in Loop: Header=BB2_97 Depth=2
	v_cmp_nlt_f64_e64 s3, |v[14:15]|, |v[16:17]|
	s_delay_alu instid0(VALU_DEP_1)
	s_and_b32 vcc_lo, exec_lo, s3
	s_cbranch_vccz .LBB2_128
; %bb.126:                              ;   in Loop: Header=BB2_97 Depth=2
	v_mul_f64 v[12:13], |v[16:17]|, s[12:13]
	s_cbranch_execz .LBB2_129
	s_branch .LBB2_130
.LBB2_127:                              ;   in Loop: Header=BB2_97 Depth=2
                                        ; implicit-def: $vgpr12_vgpr13
	s_branch .LBB2_131
.LBB2_128:                              ;   in Loop: Header=BB2_97 Depth=2
                                        ; implicit-def: $vgpr12_vgpr13
.LBB2_129:                              ;   in Loop: Header=BB2_97 Depth=2
	v_dual_mov_b32 v12, v14 :: v_dual_and_b32 v13, 0x7fffffff, v15
	v_dual_mov_b32 v18, v16 :: v_dual_and_b32 v19, 0x7fffffff, v17
	s_delay_alu instid0(VALU_DEP_1) | instskip(SKIP_1) | instid1(VALU_DEP_2)
	v_div_scale_f64 v[20:21], null, v[18:19], v[18:19], v[12:13]
	v_div_scale_f64 v[12:13], vcc_lo, v[12:13], v[18:19], v[12:13]
	v_rcp_f64_e32 v[22:23], v[20:21]
	s_waitcnt_depctr 0xfff
	v_fma_f64 v[24:25], -v[20:21], v[22:23], 1.0
	s_delay_alu instid0(VALU_DEP_1) | instskip(NEXT) | instid1(VALU_DEP_1)
	v_fma_f64 v[22:23], v[22:23], v[24:25], v[22:23]
	v_fma_f64 v[24:25], -v[20:21], v[22:23], 1.0
	s_delay_alu instid0(VALU_DEP_1) | instskip(NEXT) | instid1(VALU_DEP_1)
	v_fma_f64 v[18:19], v[22:23], v[24:25], v[22:23]
	v_mul_f64 v[22:23], v[12:13], v[18:19]
	s_delay_alu instid0(VALU_DEP_1) | instskip(NEXT) | instid1(VALU_DEP_1)
	v_fma_f64 v[12:13], -v[20:21], v[22:23], v[12:13]
	v_div_fmas_f64 v[12:13], v[12:13], v[18:19], v[22:23]
	s_delay_alu instid0(VALU_DEP_1) | instskip(NEXT) | instid1(VALU_DEP_1)
	v_div_fixup_f64 v[12:13], v[12:13], |v[16:17]|, |v[14:15]|
	v_fma_f64 v[12:13], v[12:13], v[12:13], 1.0
	s_delay_alu instid0(VALU_DEP_1) | instskip(SKIP_3) | instid1(VALU_DEP_1)
	v_cmp_gt_f64_e32 vcc_lo, 0x10000000, v[12:13]
	v_cndmask_b32_e64 v3, 0, 1, vcc_lo
	s_and_b32 s3, vcc_lo, exec_lo
	s_cselect_b32 s3, 0xffffff80, 0
	v_lshlrev_b32_e32 v3, 8, v3
	s_delay_alu instid0(VALU_DEP_1) | instskip(NEXT) | instid1(VALU_DEP_1)
	v_ldexp_f64 v[12:13], v[12:13], v3
	v_rsq_f64_e32 v[18:19], v[12:13]
	v_cmp_class_f64_e64 vcc_lo, v[12:13], 0x260
	s_waitcnt_depctr 0xfff
	v_mul_f64 v[20:21], v[12:13], v[18:19]
	v_mul_f64 v[18:19], v[18:19], 0.5
	s_delay_alu instid0(VALU_DEP_1) | instskip(NEXT) | instid1(VALU_DEP_1)
	v_fma_f64 v[22:23], -v[18:19], v[20:21], 0.5
	v_fma_f64 v[20:21], v[20:21], v[22:23], v[20:21]
	v_fma_f64 v[18:19], v[18:19], v[22:23], v[18:19]
	s_delay_alu instid0(VALU_DEP_2) | instskip(NEXT) | instid1(VALU_DEP_1)
	v_fma_f64 v[22:23], -v[20:21], v[20:21], v[12:13]
	v_fma_f64 v[20:21], v[22:23], v[18:19], v[20:21]
	s_delay_alu instid0(VALU_DEP_1) | instskip(NEXT) | instid1(VALU_DEP_1)
	v_fma_f64 v[22:23], -v[20:21], v[20:21], v[12:13]
	v_fma_f64 v[18:19], v[22:23], v[18:19], v[20:21]
	s_delay_alu instid0(VALU_DEP_1) | instskip(NEXT) | instid1(VALU_DEP_1)
	v_ldexp_f64 v[18:19], v[18:19], s3
	v_dual_cndmask_b32 v12, v18, v12 :: v_dual_cndmask_b32 v13, v19, v13
	s_delay_alu instid0(VALU_DEP_1)
	v_mul_f64 v[12:13], |v[16:17]|, v[12:13]
.LBB2_130:                              ;   in Loop: Header=BB2_97 Depth=2
	s_cbranch_execnz .LBB2_132
.LBB2_131:                              ;   in Loop: Header=BB2_97 Depth=2
	v_dual_mov_b32 v12, v16 :: v_dual_and_b32 v13, 0x7fffffff, v17
	v_dual_mov_b32 v18, v14 :: v_dual_and_b32 v19, 0x7fffffff, v15
	s_delay_alu instid0(VALU_DEP_1) | instskip(SKIP_1) | instid1(VALU_DEP_2)
	v_div_scale_f64 v[20:21], null, v[18:19], v[18:19], v[12:13]
	v_div_scale_f64 v[12:13], vcc_lo, v[12:13], v[18:19], v[12:13]
	v_rcp_f64_e32 v[22:23], v[20:21]
	s_waitcnt_depctr 0xfff
	v_fma_f64 v[24:25], -v[20:21], v[22:23], 1.0
	s_delay_alu instid0(VALU_DEP_1) | instskip(NEXT) | instid1(VALU_DEP_1)
	v_fma_f64 v[22:23], v[22:23], v[24:25], v[22:23]
	v_fma_f64 v[24:25], -v[20:21], v[22:23], 1.0
	s_delay_alu instid0(VALU_DEP_1) | instskip(NEXT) | instid1(VALU_DEP_1)
	v_fma_f64 v[18:19], v[22:23], v[24:25], v[22:23]
	v_mul_f64 v[22:23], v[12:13], v[18:19]
	s_delay_alu instid0(VALU_DEP_1) | instskip(NEXT) | instid1(VALU_DEP_1)
	v_fma_f64 v[12:13], -v[20:21], v[22:23], v[12:13]
	v_div_fmas_f64 v[12:13], v[12:13], v[18:19], v[22:23]
	s_delay_alu instid0(VALU_DEP_1) | instskip(NEXT) | instid1(VALU_DEP_1)
	v_div_fixup_f64 v[12:13], v[12:13], |v[14:15]|, |v[16:17]|
	v_fma_f64 v[12:13], v[12:13], v[12:13], 1.0
	s_delay_alu instid0(VALU_DEP_1) | instskip(SKIP_3) | instid1(VALU_DEP_1)
	v_cmp_gt_f64_e32 vcc_lo, 0x10000000, v[12:13]
	v_cndmask_b32_e64 v3, 0, 1, vcc_lo
	s_and_b32 s3, vcc_lo, exec_lo
	s_cselect_b32 s3, 0xffffff80, 0
	v_lshlrev_b32_e32 v3, 8, v3
	s_delay_alu instid0(VALU_DEP_1) | instskip(NEXT) | instid1(VALU_DEP_1)
	v_ldexp_f64 v[12:13], v[12:13], v3
	v_rsq_f64_e32 v[16:17], v[12:13]
	v_cmp_class_f64_e64 vcc_lo, v[12:13], 0x260
	s_waitcnt_depctr 0xfff
	v_mul_f64 v[18:19], v[12:13], v[16:17]
	v_mul_f64 v[16:17], v[16:17], 0.5
	s_delay_alu instid0(VALU_DEP_1) | instskip(NEXT) | instid1(VALU_DEP_1)
	v_fma_f64 v[20:21], -v[16:17], v[18:19], 0.5
	v_fma_f64 v[18:19], v[18:19], v[20:21], v[18:19]
	v_fma_f64 v[16:17], v[16:17], v[20:21], v[16:17]
	s_delay_alu instid0(VALU_DEP_2) | instskip(NEXT) | instid1(VALU_DEP_1)
	v_fma_f64 v[20:21], -v[18:19], v[18:19], v[12:13]
	v_fma_f64 v[18:19], v[20:21], v[16:17], v[18:19]
	s_delay_alu instid0(VALU_DEP_1) | instskip(NEXT) | instid1(VALU_DEP_1)
	v_fma_f64 v[20:21], -v[18:19], v[18:19], v[12:13]
	v_fma_f64 v[16:17], v[20:21], v[16:17], v[18:19]
	s_delay_alu instid0(VALU_DEP_1) | instskip(NEXT) | instid1(VALU_DEP_1)
	v_ldexp_f64 v[16:17], v[16:17], s3
	v_dual_cndmask_b32 v12, v16, v12 :: v_dual_cndmask_b32 v13, v17, v13
	s_delay_alu instid0(VALU_DEP_1)
	v_mul_f64 v[12:13], |v[14:15]|, v[12:13]
.LBB2_132:                              ;   in Loop: Header=BB2_97 Depth=2
	v_add_f64 v[16:17], v[6:7], v[10:11]
	v_cmp_gt_f64_e64 vcc_lo, |v[6:7]|, |v[10:11]|
	s_delay_alu instid0(VALU_DEP_2) | instskip(SKIP_2) | instid1(VALU_DEP_3)
	v_cmp_ngt_f64_e64 s3, 0, v[16:17]
	v_dual_cndmask_b32 v15, v7, v11 :: v_dual_cndmask_b32 v14, v6, v10
	v_dual_cndmask_b32 v7, v11, v7 :: v_dual_cndmask_b32 v6, v10, v6
	s_and_b32 vcc_lo, exec_lo, s3
	s_cbranch_vccz .LBB2_135
; %bb.133:                              ;   in Loop: Header=BB2_97 Depth=2
	v_cmp_nlt_f64_e32 vcc_lo, 0, v[16:17]
	s_cbranch_vccz .LBB2_136
; %bb.134:                              ;   in Loop: Header=BB2_97 Depth=2
	v_mul_f64 v[10:11], v[12:13], 0.5
	v_mul_f64 v[18:19], v[12:13], -0.5
	s_cbranch_execz .LBB2_137
	s_branch .LBB2_138
.LBB2_135:                              ;   in Loop: Header=BB2_97 Depth=2
                                        ; implicit-def: $vgpr18_vgpr19
                                        ; implicit-def: $vgpr10_vgpr11
	s_branch .LBB2_139
.LBB2_136:                              ;   in Loop: Header=BB2_97 Depth=2
                                        ; implicit-def: $vgpr18_vgpr19
                                        ; implicit-def: $vgpr10_vgpr11
.LBB2_137:                              ;   in Loop: Header=BB2_97 Depth=2
	v_add_f64 v[10:11], v[16:17], v[12:13]
	s_delay_alu instid0(VALU_DEP_1) | instskip(NEXT) | instid1(VALU_DEP_1)
	v_mul_f64 v[10:11], v[10:11], 0.5
	v_div_scale_f64 v[18:19], null, v[10:11], v[10:11], v[6:7]
	v_div_scale_f64 v[20:21], null, v[10:11], v[10:11], v[8:9]
	v_div_scale_f64 v[30:31], vcc_lo, v[6:7], v[10:11], v[6:7]
	s_delay_alu instid0(VALU_DEP_3) | instskip(NEXT) | instid1(VALU_DEP_2)
	v_rcp_f64_e32 v[22:23], v[18:19]
	v_rcp_f64_e32 v[24:25], v[20:21]
	s_waitcnt_depctr 0xfff
	v_fma_f64 v[26:27], -v[18:19], v[22:23], 1.0
	v_fma_f64 v[28:29], -v[20:21], v[24:25], 1.0
	s_delay_alu instid0(VALU_DEP_2) | instskip(NEXT) | instid1(VALU_DEP_2)
	v_fma_f64 v[22:23], v[22:23], v[26:27], v[22:23]
	v_fma_f64 v[24:25], v[24:25], v[28:29], v[24:25]
	s_delay_alu instid0(VALU_DEP_2) | instskip(NEXT) | instid1(VALU_DEP_2)
	v_fma_f64 v[26:27], -v[18:19], v[22:23], 1.0
	v_fma_f64 v[28:29], -v[20:21], v[24:25], 1.0
	s_delay_alu instid0(VALU_DEP_2) | instskip(SKIP_1) | instid1(VALU_DEP_3)
	v_fma_f64 v[22:23], v[22:23], v[26:27], v[22:23]
	v_div_scale_f64 v[26:27], s3, v[8:9], v[10:11], v[8:9]
	v_fma_f64 v[24:25], v[24:25], v[28:29], v[24:25]
	s_delay_alu instid0(VALU_DEP_3) | instskip(NEXT) | instid1(VALU_DEP_2)
	v_mul_f64 v[28:29], v[30:31], v[22:23]
	v_mul_f64 v[32:33], v[26:27], v[24:25]
	s_delay_alu instid0(VALU_DEP_2) | instskip(NEXT) | instid1(VALU_DEP_2)
	v_fma_f64 v[18:19], -v[18:19], v[28:29], v[30:31]
	v_fma_f64 v[20:21], -v[20:21], v[32:33], v[26:27]
	s_delay_alu instid0(VALU_DEP_2) | instskip(SKIP_1) | instid1(VALU_DEP_2)
	v_div_fmas_f64 v[18:19], v[18:19], v[22:23], v[28:29]
	s_mov_b32 vcc_lo, s3
	v_div_fmas_f64 v[20:21], v[20:21], v[24:25], v[32:33]
	s_delay_alu instid0(VALU_DEP_2) | instskip(NEXT) | instid1(VALU_DEP_2)
	v_div_fixup_f64 v[18:19], v[18:19], v[10:11], v[6:7]
	v_div_fixup_f64 v[20:21], v[20:21], v[10:11], v[8:9]
	s_delay_alu instid0(VALU_DEP_1) | instskip(NEXT) | instid1(VALU_DEP_1)
	v_mul_f64 v[20:21], v[8:9], v[20:21]
	v_fma_f64 v[18:19], v[14:15], v[18:19], -v[20:21]
.LBB2_138:                              ;   in Loop: Header=BB2_97 Depth=2
	s_cbranch_execnz .LBB2_140
.LBB2_139:                              ;   in Loop: Header=BB2_97 Depth=2
	v_add_f64 v[10:11], v[16:17], -v[12:13]
	s_delay_alu instid0(VALU_DEP_1) | instskip(NEXT) | instid1(VALU_DEP_1)
	v_mul_f64 v[10:11], v[10:11], 0.5
	v_div_scale_f64 v[12:13], null, v[10:11], v[10:11], v[6:7]
	v_div_scale_f64 v[16:17], null, v[10:11], v[10:11], v[8:9]
	v_div_scale_f64 v[26:27], vcc_lo, v[6:7], v[10:11], v[6:7]
	s_delay_alu instid0(VALU_DEP_3) | instskip(NEXT) | instid1(VALU_DEP_2)
	v_rcp_f64_e32 v[18:19], v[12:13]
	v_rcp_f64_e32 v[20:21], v[16:17]
	s_waitcnt_depctr 0xfff
	v_fma_f64 v[22:23], -v[12:13], v[18:19], 1.0
	v_fma_f64 v[24:25], -v[16:17], v[20:21], 1.0
	s_delay_alu instid0(VALU_DEP_2) | instskip(NEXT) | instid1(VALU_DEP_2)
	v_fma_f64 v[18:19], v[18:19], v[22:23], v[18:19]
	v_fma_f64 v[20:21], v[20:21], v[24:25], v[20:21]
	s_delay_alu instid0(VALU_DEP_2) | instskip(NEXT) | instid1(VALU_DEP_2)
	v_fma_f64 v[22:23], -v[12:13], v[18:19], 1.0
	v_fma_f64 v[24:25], -v[16:17], v[20:21], 1.0
	s_delay_alu instid0(VALU_DEP_2) | instskip(SKIP_1) | instid1(VALU_DEP_3)
	v_fma_f64 v[18:19], v[18:19], v[22:23], v[18:19]
	v_div_scale_f64 v[22:23], s3, v[8:9], v[10:11], v[8:9]
	v_fma_f64 v[20:21], v[20:21], v[24:25], v[20:21]
	s_delay_alu instid0(VALU_DEP_3) | instskip(NEXT) | instid1(VALU_DEP_2)
	v_mul_f64 v[24:25], v[26:27], v[18:19]
	v_mul_f64 v[28:29], v[22:23], v[20:21]
	s_delay_alu instid0(VALU_DEP_2) | instskip(NEXT) | instid1(VALU_DEP_2)
	v_fma_f64 v[12:13], -v[12:13], v[24:25], v[26:27]
	v_fma_f64 v[16:17], -v[16:17], v[28:29], v[22:23]
	s_delay_alu instid0(VALU_DEP_2) | instskip(SKIP_1) | instid1(VALU_DEP_2)
	v_div_fmas_f64 v[12:13], v[12:13], v[18:19], v[24:25]
	s_mov_b32 vcc_lo, s3
	v_div_fmas_f64 v[16:17], v[16:17], v[20:21], v[28:29]
	s_delay_alu instid0(VALU_DEP_2) | instskip(NEXT) | instid1(VALU_DEP_2)
	v_div_fixup_f64 v[6:7], v[12:13], v[10:11], v[6:7]
	v_div_fixup_f64 v[16:17], v[16:17], v[10:11], v[8:9]
	s_delay_alu instid0(VALU_DEP_1) | instskip(NEXT) | instid1(VALU_DEP_1)
	v_mul_f64 v[8:9], v[8:9], v[16:17]
	v_fma_f64 v[18:19], v[14:15], v[6:7], -v[8:9]
.LBB2_140:                              ;   in Loop: Header=BB2_97 Depth=2
	v_mov_b32_e32 v3, v2
	s_add_i32 s3, s28, -2
	s_mov_b32 s36, -1
	s_mov_b32 s37, s67
	s_clause 0x2
	global_store_b64 v2, v[10:11], s[4:5]
	global_store_b64 v2, v[18:19], s[34:35]
	;; [unrolled: 1-line block ×3, first 2 shown]
                                        ; implicit-def: $sgpr31
.LBB2_141:                              ;   in Loop: Header=BB2_97 Depth=2
	s_mov_b32 s67, s37
	s_and_b32 vcc_lo, exec_lo, s36
	s_cbranch_vccz .LBB2_96
.LBB2_142:                              ;   in Loop: Header=BB2_97 Depth=2
	s_cmp_lt_i32 s3, s69
	s_mov_b32 s31, s67
	s_cselect_b32 s4, -1, 0
	s_cmp_ge_i32 s67, s50
	s_cselect_b32 s5, -1, 0
	s_delay_alu instid0(SALU_CYCLE_1)
	s_or_b32 s29, s4, s5
	s_branch .LBB2_96
.LBB2_143:                              ;   in Loop: Header=BB2_4 Depth=1
	s_mov_b32 s67, s31
.LBB2_144:                              ;   in Loop: Header=BB2_4 Depth=1
	s_delay_alu instid0(SALU_CYCLE_1)
	s_mov_b32 s37, s67
	v_cmp_lt_f64_e32 vcc_lo, s[14:15], v[4:5]
	s_and_not1_b32 vcc_lo, exec_lo, vcc_lo
	s_cbranch_vccnz .LBB2_148
.LBB2_145:                              ;   in Loop: Header=BB2_4 Depth=1
	s_waitcnt vmcnt(0)
	v_div_scale_f64 v[6:7], null, v[4:5], v[4:5], s[14:15]
	global_load_b64 v[10:11], v2, s[26:27]
	v_rcp_f64_e32 v[8:9], v[6:7]
	s_waitcnt_depctr 0xfff
	v_fma_f64 v[12:13], -v[6:7], v[8:9], 1.0
	s_delay_alu instid0(VALU_DEP_1) | instskip(NEXT) | instid1(VALU_DEP_1)
	v_fma_f64 v[8:9], v[8:9], v[12:13], v[8:9]
	v_fma_f64 v[12:13], -v[6:7], v[8:9], 1.0
	s_delay_alu instid0(VALU_DEP_1) | instskip(SKIP_1) | instid1(VALU_DEP_1)
	v_fma_f64 v[8:9], v[8:9], v[12:13], v[8:9]
	v_div_scale_f64 v[12:13], vcc_lo, s[14:15], v[4:5], s[14:15]
	v_mul_f64 v[14:15], v[12:13], v[8:9]
	s_delay_alu instid0(VALU_DEP_1) | instskip(NEXT) | instid1(VALU_DEP_1)
	v_fma_f64 v[6:7], -v[6:7], v[14:15], v[12:13]
	v_div_fmas_f64 v[6:7], v[6:7], v[8:9], v[14:15]
	s_and_b32 vcc_lo, exec_lo, s2
	s_delay_alu instid0(VALU_DEP_1) | instskip(SKIP_1) | instid1(VALU_DEP_1)
	v_div_fixup_f64 v[6:7], v[6:7], v[4:5], s[14:15]
	s_waitcnt vmcnt(0)
	v_mul_f64 v[8:9], v[6:7], v[10:11]
	global_store_b64 v2, v[8:9], s[26:27]
	s_cbranch_vccnz .LBB2_148
; %bb.146:                              ;   in Loop: Header=BB2_4 Depth=1
	s_add_u32 s4, s60, s24
	s_addc_u32 s5, s61, s25
	s_add_u32 s28, s56, s24
	s_addc_u32 s29, s57, s25
	s_mov_b32 s3, s68
	.p2align	6
.LBB2_147:                              ;   Parent Loop BB2_4 Depth=1
                                        ; =>  This Inner Loop Header: Depth=2
	global_load_b64 v[8:9], v2, s[4:5]
	s_add_i32 s3, s3, 1
	s_waitcnt vmcnt(0)
	v_mul_f64 v[8:9], v[6:7], v[8:9]
	global_store_b64 v2, v[8:9], s[4:5]
	global_load_b64 v[8:9], v2, s[28:29]
	s_add_u32 s4, s4, 8
	s_addc_u32 s5, s5, 0
	s_waitcnt vmcnt(0)
	v_mul_f64 v[8:9], v[6:7], v[8:9]
	global_store_b64 v2, v[8:9], s[28:29]
	s_add_u32 s28, s28, 8
	s_addc_u32 s29, s29, 0
	s_cmp_lt_i32 s3, s22
	s_cbranch_scc1 .LBB2_147
.LBB2_148:                              ;   in Loop: Header=BB2_4 Depth=1
	v_cmp_ngt_f64_e32 vcc_lo, s[18:19], v[4:5]
	s_cbranch_vccnz .LBB2_2
; %bb.149:                              ;   in Loop: Header=BB2_4 Depth=1
	s_waitcnt vmcnt(0)
	v_div_scale_f64 v[6:7], null, v[4:5], v[4:5], s[18:19]
	global_load_b64 v[10:11], v2, s[26:27]
	v_rcp_f64_e32 v[8:9], v[6:7]
	s_waitcnt_depctr 0xfff
	v_fma_f64 v[12:13], -v[6:7], v[8:9], 1.0
	s_delay_alu instid0(VALU_DEP_1) | instskip(NEXT) | instid1(VALU_DEP_1)
	v_fma_f64 v[8:9], v[8:9], v[12:13], v[8:9]
	v_fma_f64 v[12:13], -v[6:7], v[8:9], 1.0
	s_delay_alu instid0(VALU_DEP_1) | instskip(SKIP_1) | instid1(VALU_DEP_1)
	v_fma_f64 v[8:9], v[8:9], v[12:13], v[8:9]
	v_div_scale_f64 v[12:13], vcc_lo, s[18:19], v[4:5], s[18:19]
	v_mul_f64 v[14:15], v[12:13], v[8:9]
	s_delay_alu instid0(VALU_DEP_1) | instskip(NEXT) | instid1(VALU_DEP_1)
	v_fma_f64 v[6:7], -v[6:7], v[14:15], v[12:13]
	v_div_fmas_f64 v[6:7], v[6:7], v[8:9], v[14:15]
	s_and_b32 vcc_lo, exec_lo, s2
	s_delay_alu instid0(VALU_DEP_1) | instskip(SKIP_1) | instid1(VALU_DEP_1)
	v_div_fixup_f64 v[3:4], v[6:7], v[4:5], s[18:19]
	s_waitcnt vmcnt(0)
	v_mul_f64 v[5:6], v[3:4], v[10:11]
	global_store_b64 v2, v[5:6], s[26:27]
	s_cbranch_vccnz .LBB2_2
; %bb.150:                              ;   in Loop: Header=BB2_4 Depth=1
	s_add_u32 s2, s60, s24
	s_addc_u32 s3, s61, s25
	s_add_u32 s4, s56, s24
	s_addc_u32 s5, s57, s25
	.p2align	6
.LBB2_151:                              ;   Parent Loop BB2_4 Depth=1
                                        ; =>  This Inner Loop Header: Depth=2
	global_load_b64 v[5:6], v2, s[2:3]
	s_add_i32 s68, s68, 1
	s_waitcnt vmcnt(0)
	v_mul_f64 v[5:6], v[3:4], v[5:6]
	global_store_b64 v2, v[5:6], s[2:3]
	global_load_b64 v[5:6], v2, s[4:5]
	s_add_u32 s2, s2, 8
	s_addc_u32 s3, s3, 0
	s_waitcnt vmcnt(0)
	v_mul_f64 v[5:6], v[3:4], v[5:6]
	global_store_b64 v2, v[5:6], s[4:5]
	s_add_u32 s4, s4, 8
	s_addc_u32 s5, s5, 0
	s_cmp_lt_i32 s68, s22
	s_cbranch_scc1 .LBB2_151
	s_branch .LBB2_2
.LBB2_152:
	s_cmp_lt_i32 s33, 2
	s_cbranch_scc1 .LBB2_163
; %bb.153:
	s_load_b64 s[0:1], s[0:1], 0x28
	s_lshl_b64 s[2:3], s[20:21], 2
	v_mov_b32_e32 v0, 0
	s_waitcnt lgkmcnt(0)
	s_add_u32 s0, s0, s2
	s_addc_u32 s1, s1, s3
	s_mov_b32 s2, 1
	s_branch .LBB2_155
.LBB2_154:                              ;   in Loop: Header=BB2_155 Depth=1
	s_add_i32 s2, s2, 1
	s_add_u32 s10, s10, 8
	s_addc_u32 s11, s11, 0
	s_cmp_lg_u32 s33, s2
	s_cbranch_scc0 .LBB2_157
.LBB2_155:                              ; =>This Inner Loop Header: Depth=1
	global_load_b64 v[1:2], v0, s[10:11]
	s_waitcnt vmcnt(0)
	v_cmp_eq_f64_e32 vcc_lo, 0, v[1:2]
	s_cbranch_vccnz .LBB2_154
; %bb.156:                              ;   in Loop: Header=BB2_155 Depth=1
	global_load_b32 v1, v0, s[0:1]
	s_waitcnt vmcnt(0)
	v_add_nc_u32_e32 v1, 1, v1
	global_store_b32 v0, v1, s[0:1]
	s_branch .LBB2_154
.LBB2_157:
	s_add_u32 s10, s48, -8
	s_addc_u32 s11, s49, -1
	s_add_u32 s0, s6, s8
	v_mov_b32_e32 v4, 0
	s_addc_u32 s1, s7, s9
	s_add_u32 s0, s0, 8
	s_addc_u32 s1, s1, 0
	s_mov_b32 s2, 1
	s_set_inst_prefetch_distance 0x1
	s_branch .LBB2_159
	.p2align	6
.LBB2_158:                              ;   in Loop: Header=BB2_159 Depth=1
	s_add_i32 s2, s2, 1
	s_add_u32 s0, s0, 8
	s_addc_u32 s1, s1, 0
	s_cmp_lg_u32 s2, s33
	s_cbranch_scc0 .LBB2_163
.LBB2_159:                              ; =>This Loop Header: Depth=1
                                        ;     Child Loop BB2_160 Depth 2
	s_ashr_i32 s3, s2, 31
	s_mov_b64 s[8:9], s[0:1]
	s_lshl_b64 s[4:5], s[2:3], 3
	s_add_i32 s3, s2, -1
	s_add_u32 s4, s10, s4
	s_addc_u32 s5, s11, s5
	s_mov_b32 s7, s2
	global_load_b64 v[0:1], v4, s[4:5]
	s_mov_b32 s6, s3
	s_waitcnt vmcnt(0)
	v_dual_mov_b32 v3, v1 :: v_dual_mov_b32 v2, v0
.LBB2_160:                              ;   Parent Loop BB2_159 Depth=1
                                        ; =>  This Inner Loop Header: Depth=2
	global_load_b64 v[5:6], v4, s[8:9]
	s_waitcnt vmcnt(0)
	v_cmp_lt_f64_e32 vcc_lo, v[5:6], v[2:3]
	s_and_b32 s12, vcc_lo, exec_lo
	v_dual_cndmask_b32 v3, v3, v6 :: v_dual_cndmask_b32 v2, v2, v5
	s_cselect_b32 s6, s7, s6
	s_add_i32 s7, s7, 1
	s_add_u32 s8, s8, 8
	s_addc_u32 s9, s9, 0
	s_cmp_ge_i32 s7, s33
	s_cbranch_scc0 .LBB2_160
; %bb.161:                              ;   in Loop: Header=BB2_159 Depth=1
	s_cmp_lg_u32 s6, s3
	s_cbranch_scc0 .LBB2_158
; %bb.162:                              ;   in Loop: Header=BB2_159 Depth=1
	s_ashr_i32 s7, s6, 31
	s_delay_alu instid0(SALU_CYCLE_1) | instskip(NEXT) | instid1(SALU_CYCLE_1)
	s_lshl_b64 s[6:7], s[6:7], 3
	s_add_u32 s6, s48, s6
	s_addc_u32 s7, s49, s7
	s_clause 0x1
	global_store_b64 v4, v[0:1], s[6:7]
	global_store_b64 v4, v[2:3], s[4:5]
	s_branch .LBB2_158
.LBB2_163:
	s_set_inst_prefetch_distance 0x2
	s_nop 0
	s_sendmsg sendmsg(MSG_DEALLOC_VGPRS)
	s_endpgm
	.section	.rodata,"a",@progbits
	.p2align	6, 0x0
	.amdhsa_kernel _ZN9rocsolver6v33100L12sterf_kernelIdEEviPT_lS3_lPiS4_iS2_S2_S2_
		.amdhsa_group_segment_fixed_size 0
		.amdhsa_private_segment_fixed_size 0
		.amdhsa_kernarg_size 88
		.amdhsa_user_sgpr_count 15
		.amdhsa_user_sgpr_dispatch_ptr 0
		.amdhsa_user_sgpr_queue_ptr 0
		.amdhsa_user_sgpr_kernarg_segment_ptr 1
		.amdhsa_user_sgpr_dispatch_id 0
		.amdhsa_user_sgpr_private_segment_size 0
		.amdhsa_wavefront_size32 1
		.amdhsa_uses_dynamic_stack 0
		.amdhsa_enable_private_segment 0
		.amdhsa_system_sgpr_workgroup_id_x 1
		.amdhsa_system_sgpr_workgroup_id_y 0
		.amdhsa_system_sgpr_workgroup_id_z 0
		.amdhsa_system_sgpr_workgroup_info 0
		.amdhsa_system_vgpr_workitem_id 0
		.amdhsa_next_free_vgpr 38
		.amdhsa_next_free_sgpr 71
		.amdhsa_reserve_vcc 1
		.amdhsa_float_round_mode_32 0
		.amdhsa_float_round_mode_16_64 0
		.amdhsa_float_denorm_mode_32 3
		.amdhsa_float_denorm_mode_16_64 3
		.amdhsa_dx10_clamp 1
		.amdhsa_ieee_mode 1
		.amdhsa_fp16_overflow 0
		.amdhsa_workgroup_processor_mode 1
		.amdhsa_memory_ordered 1
		.amdhsa_forward_progress 0
		.amdhsa_shared_vgpr_count 0
		.amdhsa_exception_fp_ieee_invalid_op 0
		.amdhsa_exception_fp_denorm_src 0
		.amdhsa_exception_fp_ieee_div_zero 0
		.amdhsa_exception_fp_ieee_overflow 0
		.amdhsa_exception_fp_ieee_underflow 0
		.amdhsa_exception_fp_ieee_inexact 0
		.amdhsa_exception_int_div_zero 0
	.end_amdhsa_kernel
	.section	.text._ZN9rocsolver6v33100L12sterf_kernelIdEEviPT_lS3_lPiS4_iS2_S2_S2_,"axG",@progbits,_ZN9rocsolver6v33100L12sterf_kernelIdEEviPT_lS3_lPiS4_iS2_S2_S2_,comdat
.Lfunc_end2:
	.size	_ZN9rocsolver6v33100L12sterf_kernelIdEEviPT_lS3_lPiS4_iS2_S2_S2_, .Lfunc_end2-_ZN9rocsolver6v33100L12sterf_kernelIdEEviPT_lS3_lPiS4_iS2_S2_S2_
                                        ; -- End function
	.section	.AMDGPU.csdata,"",@progbits
; Kernel info:
; codeLenInByte = 10396
; NumSgprs: 73
; NumVgprs: 38
; ScratchSize: 0
; MemoryBound: 0
; FloatMode: 240
; IeeeMode: 1
; LDSByteSize: 0 bytes/workgroup (compile time only)
; SGPRBlocks: 9
; VGPRBlocks: 4
; NumSGPRsForWavesPerEU: 73
; NumVGPRsForWavesPerEU: 38
; Occupancy: 16
; WaveLimiterHint : 0
; COMPUTE_PGM_RSRC2:SCRATCH_EN: 0
; COMPUTE_PGM_RSRC2:USER_SGPR: 15
; COMPUTE_PGM_RSRC2:TRAP_HANDLER: 0
; COMPUTE_PGM_RSRC2:TGID_X_EN: 1
; COMPUTE_PGM_RSRC2:TGID_Y_EN: 0
; COMPUTE_PGM_RSRC2:TGID_Z_EN: 0
; COMPUTE_PGM_RSRC2:TIDIG_COMP_CNT: 0
	.text
	.p2alignl 7, 3214868480
	.fill 96, 4, 3214868480
	.type	__hip_cuid_27c97e1cb32111c0,@object ; @__hip_cuid_27c97e1cb32111c0
	.section	.bss,"aw",@nobits
	.globl	__hip_cuid_27c97e1cb32111c0
__hip_cuid_27c97e1cb32111c0:
	.byte	0                               ; 0x0
	.size	__hip_cuid_27c97e1cb32111c0, 1

	.ident	"AMD clang version 19.0.0git (https://github.com/RadeonOpenCompute/llvm-project roc-6.4.0 25133 c7fe45cf4b819c5991fe208aaa96edf142730f1d)"
	.section	".note.GNU-stack","",@progbits
	.addrsig
	.addrsig_sym __hip_cuid_27c97e1cb32111c0
	.amdgpu_metadata
---
amdhsa.kernels:
  - .args:
      - .address_space:  global
        .offset:         0
        .size:           8
        .value_kind:     global_buffer
      - .offset:         8
        .size:           4
        .value_kind:     by_value
      - .offset:         12
        .size:           4
        .value_kind:     by_value
      - .offset:         16
        .size:           4
        .value_kind:     by_value
      - .offset:         24
        .size:           4
        .value_kind:     hidden_block_count_x
      - .offset:         28
        .size:           4
        .value_kind:     hidden_block_count_y
      - .offset:         32
        .size:           4
        .value_kind:     hidden_block_count_z
      - .offset:         36
        .size:           2
        .value_kind:     hidden_group_size_x
      - .offset:         38
        .size:           2
        .value_kind:     hidden_group_size_y
      - .offset:         40
        .size:           2
        .value_kind:     hidden_group_size_z
      - .offset:         42
        .size:           2
        .value_kind:     hidden_remainder_x
      - .offset:         44
        .size:           2
        .value_kind:     hidden_remainder_y
      - .offset:         46
        .size:           2
        .value_kind:     hidden_remainder_z
      - .offset:         64
        .size:           8
        .value_kind:     hidden_global_offset_x
      - .offset:         72
        .size:           8
        .value_kind:     hidden_global_offset_y
      - .offset:         80
        .size:           8
        .value_kind:     hidden_global_offset_z
      - .offset:         88
        .size:           2
        .value_kind:     hidden_grid_dims
    .group_segment_fixed_size: 0
    .kernarg_segment_align: 8
    .kernarg_segment_size: 280
    .language:       OpenCL C
    .language_version:
      - 2
      - 0
    .max_flat_workgroup_size: 1024
    .name:           _ZN9rocsolver6v33100L10reset_infoIiiiEEvPT_T0_T1_S4_
    .private_segment_fixed_size: 0
    .sgpr_count:     18
    .sgpr_spill_count: 0
    .symbol:         _ZN9rocsolver6v33100L10reset_infoIiiiEEvPT_T0_T1_S4_.kd
    .uniform_work_group_size: 1
    .uses_dynamic_stack: false
    .vgpr_count:     6
    .vgpr_spill_count: 0
    .wavefront_size: 32
    .workgroup_processor_mode: 1
  - .args:
      - .offset:         0
        .size:           4
        .value_kind:     by_value
      - .address_space:  global
        .offset:         8
        .size:           8
        .value_kind:     global_buffer
      - .offset:         16
        .size:           8
        .value_kind:     by_value
      - .address_space:  global
        .offset:         24
        .size:           8
        .value_kind:     global_buffer
      - .offset:         32
        .size:           8
        .value_kind:     by_value
      - .address_space:  global
        .offset:         40
        .size:           8
        .value_kind:     global_buffer
      - .address_space:  global
        .offset:         48
        .size:           8
        .value_kind:     global_buffer
      - .offset:         56
        .size:           4
        .value_kind:     by_value
      - .offset:         60
        .size:           4
        .value_kind:     by_value
      - .offset:         64
        .size:           4
        .value_kind:     by_value
      - .offset:         68
        .size:           4
        .value_kind:     by_value
    .group_segment_fixed_size: 0
    .kernarg_segment_align: 8
    .kernarg_segment_size: 72
    .language:       OpenCL C
    .language_version:
      - 2
      - 0
    .max_flat_workgroup_size: 1024
    .name:           _ZN9rocsolver6v33100L12sterf_kernelIfEEviPT_lS3_lPiS4_iS2_S2_S2_
    .private_segment_fixed_size: 0
    .sgpr_count:     70
    .sgpr_spill_count: 0
    .symbol:         _ZN9rocsolver6v33100L12sterf_kernelIfEEviPT_lS3_lPiS4_iS2_S2_S2_.kd
    .uniform_work_group_size: 1
    .uses_dynamic_stack: false
    .vgpr_count:     31
    .vgpr_spill_count: 0
    .wavefront_size: 32
    .workgroup_processor_mode: 1
  - .args:
      - .offset:         0
        .size:           4
        .value_kind:     by_value
      - .address_space:  global
        .offset:         8
        .size:           8
        .value_kind:     global_buffer
      - .offset:         16
        .size:           8
        .value_kind:     by_value
      - .address_space:  global
        .offset:         24
        .size:           8
        .value_kind:     global_buffer
      - .offset:         32
        .size:           8
        .value_kind:     by_value
      - .address_space:  global
        .offset:         40
        .size:           8
        .value_kind:     global_buffer
      - .address_space:  global
        .offset:         48
        .size:           8
        .value_kind:     global_buffer
      - .offset:         56
        .size:           4
        .value_kind:     by_value
      - .offset:         64
        .size:           8
        .value_kind:     by_value
      - .offset:         72
        .size:           8
        .value_kind:     by_value
      - .offset:         80
        .size:           8
        .value_kind:     by_value
    .group_segment_fixed_size: 0
    .kernarg_segment_align: 8
    .kernarg_segment_size: 88
    .language:       OpenCL C
    .language_version:
      - 2
      - 0
    .max_flat_workgroup_size: 1024
    .name:           _ZN9rocsolver6v33100L12sterf_kernelIdEEviPT_lS3_lPiS4_iS2_S2_S2_
    .private_segment_fixed_size: 0
    .sgpr_count:     73
    .sgpr_spill_count: 0
    .symbol:         _ZN9rocsolver6v33100L12sterf_kernelIdEEviPT_lS3_lPiS4_iS2_S2_S2_.kd
    .uniform_work_group_size: 1
    .uses_dynamic_stack: false
    .vgpr_count:     38
    .vgpr_spill_count: 0
    .wavefront_size: 32
    .workgroup_processor_mode: 1
amdhsa.target:   amdgcn-amd-amdhsa--gfx1100
amdhsa.version:
  - 1
  - 2
...

	.end_amdgpu_metadata
